;; amdgpu-corpus repo=ROCm/rocFFT kind=compiled arch=gfx906 opt=O3
	.text
	.amdgcn_target "amdgcn-amd-amdhsa--gfx906"
	.amdhsa_code_object_version 6
	.protected	bluestein_single_fwd_len289_dim1_half_op_CI_CI ; -- Begin function bluestein_single_fwd_len289_dim1_half_op_CI_CI
	.globl	bluestein_single_fwd_len289_dim1_half_op_CI_CI
	.p2align	8
	.type	bluestein_single_fwd_len289_dim1_half_op_CI_CI,@function
bluestein_single_fwd_len289_dim1_half_op_CI_CI: ; @bluestein_single_fwd_len289_dim1_half_op_CI_CI
; %bb.0:
	v_mul_u32_u24_e32 v1, 0xf10, v0
	s_load_dwordx4 s[12:15], s[4:5], 0x28
	v_lshrrev_b32_e32 v1, 16, v1
	v_mad_u64_u32 v[16:17], s[0:1], s6, 7, v[1:2]
	v_mov_b32_e32 v17, 0
	s_waitcnt lgkmcnt(0)
	v_cmp_gt_u64_e32 vcc, s[12:13], v[16:17]
	s_and_saveexec_b64 s[0:1], vcc
	s_cbranch_execz .LBB0_2
; %bb.1:
	s_load_dwordx4 s[8:11], s[4:5], 0x18
	s_load_dwordx4 s[0:3], s[4:5], 0x0
	v_mul_lo_u16_e32 v1, 17, v1
	v_sub_u16_e32 v38, v0, v1
	v_mov_b32_e32 v7, s15
	s_waitcnt lgkmcnt(0)
	s_load_dwordx4 s[16:19], s[8:9], 0x0
	v_lshlrev_b32_e32 v17, 2, v38
	s_movk_i32 s15, 0x39e9
	s_mov_b32 s20, 0xbbddb1e1
	s_mov_b32 s21, 0x3b7635c8
	s_waitcnt lgkmcnt(0)
	v_mad_u64_u32 v[0:1], s[6:7], s18, v16, 0
	v_mad_u64_u32 v[2:3], s[6:7], s16, v38, 0
	s_mul_i32 s8, s17, 0x44
	s_mul_hi_u32 s12, s16, 0x44
	v_mad_u64_u32 v[4:5], s[6:7], s19, v16, v[1:2]
	s_mul_i32 s13, s16, 0x44
	s_movk_i32 s16, 0x3b76
	v_mad_u64_u32 v[5:6], s[6:7], s17, v38, v[3:4]
	v_mov_b32_e32 v1, v4
	v_lshlrev_b64 v[0:1], 2, v[0:1]
	v_mov_b32_e32 v3, v5
	v_add_co_u32_e32 v4, vcc, s14, v0
	v_addc_co_u32_e32 v5, vcc, v7, v1, vcc
	v_lshlrev_b64 v[0:1], 2, v[2:3]
	s_add_u32 s6, s0, 0x484
	v_add_co_u32_e32 v0, vcc, v4, v0
	s_addc_u32 s7, s1, 0
	v_addc_co_u32_e32 v1, vcc, v5, v1, vcc
	s_add_i32 s12, s12, s8
	global_load_dword v2, v[0:1], off
	v_mov_b32_e32 v3, s12
	v_add_co_u32_e32 v0, vcc, s13, v0
	v_addc_co_u32_e32 v1, vcc, v1, v3, vcc
	global_load_dword v3, v[0:1], off
	global_load_dword v39, v17, s[0:1]
	global_load_dword v37, v17, s[0:1] offset:68
	v_mov_b32_e32 v4, s12
	v_add_co_u32_e32 v0, vcc, s13, v0
	v_addc_co_u32_e32 v1, vcc, v1, v4, vcc
	global_load_dword v5, v[0:1], off
	global_load_dword v36, v17, s[0:1] offset:136
	v_add_co_u32_e32 v0, vcc, s13, v0
	v_addc_co_u32_e32 v1, vcc, v1, v4, vcc
	global_load_dword v6, v[0:1], off
	global_load_dword v35, v17, s[0:1] offset:204
	s_mov_b32 s8, 0x24924925
	v_mul_hi_u32 v4, v16, s8
	v_add_co_u32_e32 v0, vcc, s13, v0
	s_load_dwordx4 s[8:11], s[10:11], 0x0
	v_sub_u32_e32 v7, v16, v4
	v_lshrrev_b32_e32 v7, 1, v7
	v_add_u32_e32 v4, v7, v4
	v_lshrrev_b32_e32 v4, 2, v4
	v_mov_b32_e32 v7, s12
	v_mul_lo_u32 v4, v4, 7
	v_addc_co_u32_e32 v1, vcc, v1, v7, vcc
	global_load_dword v34, v17, s[0:1] offset:272
	global_load_dword v33, v17, s[0:1] offset:340
	;; [unrolled: 1-line block ×4, first 2 shown]
	global_load_dword v7, v[0:1], off
	v_mov_b32_e32 v8, s12
	v_add_co_u32_e32 v0, vcc, s13, v0
	v_sub_u32_e32 v4, v16, v4
	v_addc_co_u32_e32 v1, vcc, v1, v8, vcc
	v_mul_u32_u24_e32 v4, 0x121, v4
	global_load_dword v8, v[0:1], off
	v_lshlrev_b32_e32 v4, 2, v4
	v_add_u32_e32 v21, v17, v4
	v_mov_b32_e32 v9, s12
	v_add_co_u32_e32 v0, vcc, s13, v0
	v_addc_co_u32_e32 v1, vcc, v1, v9, vcc
	v_mov_b32_e32 v15, s12
	s_mov_b32 s14, 0xb461
	s_mov_b32 s17, 0xb8d2
	;; [unrolled: 1-line block ×8, first 2 shown]
	s_movk_i32 s28, 0x3836
	s_movk_i32 s23, 0x3b29
	s_movk_i32 s26, 0x3964
	s_movk_i32 s29, 0x35c8
	s_movk_i32 s27, 0x3a62
	s_load_dwordx2 s[4:5], s[4:5], 0x38
	s_waitcnt vmcnt(13)
	v_lshrrev_b32_e32 v10, 16, v2
	s_waitcnt vmcnt(11)
	v_mul_f16_sdwa v11, v39, v2 dst_sel:DWORD dst_unused:UNUSED_PAD src0_sel:WORD_1 src1_sel:DWORD
	v_mul_f16_sdwa v12, v39, v10 dst_sel:DWORD dst_unused:UNUSED_PAD src0_sel:WORD_1 src1_sel:DWORD
	v_fma_f16 v10, v39, v10, -v11
	v_lshrrev_b32_e32 v11, 16, v3
	s_waitcnt vmcnt(10)
	v_mul_f16_sdwa v13, v37, v3 dst_sel:DWORD dst_unused:UNUSED_PAD src0_sel:WORD_1 src1_sel:DWORD
	v_fma_f16 v2, v39, v2, v12
	v_mul_f16_sdwa v12, v37, v11 dst_sel:DWORD dst_unused:UNUSED_PAD src0_sel:WORD_1 src1_sel:DWORD
	v_fma_f16 v11, v37, v11, -v13
	s_waitcnt vmcnt(9)
	v_lshrrev_b32_e32 v13, 16, v5
	s_waitcnt vmcnt(8)
	v_mul_f16_sdwa v14, v36, v5 dst_sel:DWORD dst_unused:UNUSED_PAD src0_sel:WORD_1 src1_sel:DWORD
	v_pack_b32_f16 v2, v2, v10
	v_fma_f16 v3, v37, v3, v12
	v_mul_f16_sdwa v10, v36, v13 dst_sel:DWORD dst_unused:UNUSED_PAD src0_sel:WORD_1 src1_sel:DWORD
	v_fma_f16 v12, v36, v13, -v14
	s_waitcnt vmcnt(7)
	v_lshrrev_b32_e32 v13, 16, v6
	s_waitcnt vmcnt(6)
	v_mul_f16_sdwa v14, v35, v6 dst_sel:DWORD dst_unused:UNUSED_PAD src0_sel:WORD_1 src1_sel:DWORD
	v_pack_b32_f16 v3, v3, v11
	v_fma_f16 v5, v36, v5, v10
	v_mul_f16_sdwa v10, v35, v13 dst_sel:DWORD dst_unused:UNUSED_PAD src0_sel:WORD_1 src1_sel:DWORD
	v_fma_f16 v11, v35, v13, -v14
	ds_write2_b32 v21, v2, v3 offset1:17
	v_fma_f16 v3, v35, v6, v10
	v_pack_b32_f16 v2, v5, v12
	v_pack_b32_f16 v3, v3, v11
	ds_write2_b32 v21, v2, v3 offset0:34 offset1:51
	global_load_dword v2, v[0:1], off
	v_mov_b32_e32 v3, s12
	v_add_co_u32_e32 v0, vcc, s13, v0
	v_addc_co_u32_e32 v1, vcc, v1, v3, vcc
	global_load_dword v3, v[0:1], off
	v_mov_b32_e32 v5, s12
	v_add_co_u32_e32 v0, vcc, s13, v0
	v_addc_co_u32_e32 v1, vcc, v1, v5, vcc
	global_load_dword v5, v[0:1], off
	global_load_dword v30, v17, s[0:1] offset:544
	v_mov_b32_e32 v6, s12
	v_add_co_u32_e32 v0, vcc, s13, v0
	v_addc_co_u32_e32 v1, vcc, v1, v6, vcc
	global_load_dword v6, v[0:1], off
	global_load_dword v29, v17, s[0:1] offset:612
	v_add_co_u32_e32 v0, vcc, s13, v0
	v_addc_co_u32_e32 v1, vcc, v1, v9, vcc
	global_load_dword v9, v[0:1], off
	global_load_dword v28, v17, s[0:1] offset:680
	v_mov_b32_e32 v10, s12
	v_add_co_u32_e32 v0, vcc, s13, v0
	v_addc_co_u32_e32 v1, vcc, v1, v10, vcc
	global_load_dword v10, v[0:1], off
	global_load_dword v27, v17, s[0:1] offset:748
	v_mov_b32_e32 v11, s12
	;; [unrolled: 5-line block ×5, first 2 shown]
	v_add_co_u32_e32 v0, vcc, s13, v0
	v_addc_co_u32_e32 v1, vcc, v1, v14, vcc
	global_load_dword v14, v[0:1], off
	global_load_dword v23, v17, s[0:1] offset:1020
	v_add_co_u32_e32 v0, vcc, s13, v0
	v_addc_co_u32_e32 v1, vcc, v1, v15, vcc
	global_load_dword v15, v[0:1], off
	global_load_dword v22, v17, s[0:1] offset:1088
	s_waitcnt vmcnt(21)
	v_lshrrev_b32_e32 v0, 16, v7
	v_mul_f16_sdwa v1, v34, v0 dst_sel:DWORD dst_unused:UNUSED_PAD src0_sel:WORD_1 src1_sel:DWORD
	v_fma_f16 v1, v34, v7, v1
	v_mul_f16_sdwa v7, v34, v7 dst_sel:DWORD dst_unused:UNUSED_PAD src0_sel:WORD_1 src1_sel:DWORD
	v_fma_f16 v0, v34, v0, -v7
	v_pack_b32_f16 v0, v1, v0
	s_waitcnt vmcnt(20)
	v_lshrrev_b32_e32 v1, 16, v8
	v_mul_f16_sdwa v7, v33, v1 dst_sel:DWORD dst_unused:UNUSED_PAD src0_sel:WORD_1 src1_sel:DWORD
	v_fma_f16 v7, v33, v8, v7
	v_mul_f16_sdwa v8, v33, v8 dst_sel:DWORD dst_unused:UNUSED_PAD src0_sel:WORD_1 src1_sel:DWORD
	v_fma_f16 v1, v33, v1, -v8
	v_pack_b32_f16 v1, v7, v1
	ds_write2_b32 v21, v0, v1 offset0:68 offset1:85
	s_movk_i32 s13, 0x3722
	s_movk_i32 s12, 0x2de8
	s_waitcnt vmcnt(19)
	v_lshrrev_b32_e32 v0, 16, v2
	v_mul_f16_sdwa v1, v32, v0 dst_sel:DWORD dst_unused:UNUSED_PAD src0_sel:WORD_1 src1_sel:DWORD
	v_fma_f16 v1, v32, v2, v1
	v_mul_f16_sdwa v2, v32, v2 dst_sel:DWORD dst_unused:UNUSED_PAD src0_sel:WORD_1 src1_sel:DWORD
	v_fma_f16 v0, v32, v0, -v2
	v_pack_b32_f16 v0, v1, v0
	s_waitcnt vmcnt(18)
	v_lshrrev_b32_e32 v1, 16, v3
	v_mul_f16_sdwa v2, v31, v1 dst_sel:DWORD dst_unused:UNUSED_PAD src0_sel:WORD_1 src1_sel:DWORD
	v_fma_f16 v2, v31, v3, v2
	v_mul_f16_sdwa v3, v31, v3 dst_sel:DWORD dst_unused:UNUSED_PAD src0_sel:WORD_1 src1_sel:DWORD
	v_fma_f16 v1, v31, v1, -v3
	v_pack_b32_f16 v1, v2, v1
	ds_write2_b32 v21, v0, v1 offset0:102 offset1:119
	s_waitcnt vmcnt(17)
	v_lshrrev_b32_e32 v0, 16, v5
	s_waitcnt vmcnt(16)
	v_mul_f16_sdwa v1, v30, v0 dst_sel:DWORD dst_unused:UNUSED_PAD src0_sel:WORD_1 src1_sel:DWORD
	v_mul_f16_sdwa v2, v30, v5 dst_sel:DWORD dst_unused:UNUSED_PAD src0_sel:WORD_1 src1_sel:DWORD
	v_fma_f16 v1, v30, v5, v1
	v_fma_f16 v0, v30, v0, -v2
	v_pack_b32_f16 v0, v1, v0
	s_waitcnt vmcnt(15)
	v_lshrrev_b32_e32 v1, 16, v6
	s_waitcnt vmcnt(14)
	v_mul_f16_sdwa v2, v29, v1 dst_sel:DWORD dst_unused:UNUSED_PAD src0_sel:WORD_1 src1_sel:DWORD
	v_mul_f16_sdwa v3, v29, v6 dst_sel:DWORD dst_unused:UNUSED_PAD src0_sel:WORD_1 src1_sel:DWORD
	v_fma_f16 v2, v29, v6, v2
	v_fma_f16 v1, v29, v1, -v3
	v_pack_b32_f16 v1, v2, v1
	ds_write2_b32 v21, v0, v1 offset0:136 offset1:153
	s_waitcnt vmcnt(13)
	v_lshrrev_b32_e32 v0, 16, v9
	s_waitcnt vmcnt(12)
	v_mul_f16_sdwa v1, v28, v0 dst_sel:DWORD dst_unused:UNUSED_PAD src0_sel:WORD_1 src1_sel:DWORD
	v_mul_f16_sdwa v2, v28, v9 dst_sel:DWORD dst_unused:UNUSED_PAD src0_sel:WORD_1 src1_sel:DWORD
	v_fma_f16 v1, v28, v9, v1
	v_fma_f16 v0, v28, v0, -v2
	v_pack_b32_f16 v0, v1, v0
	s_waitcnt vmcnt(11)
	v_lshrrev_b32_e32 v1, 16, v10
	s_waitcnt vmcnt(10)
	v_mul_f16_sdwa v2, v27, v1 dst_sel:DWORD dst_unused:UNUSED_PAD src0_sel:WORD_1 src1_sel:DWORD
	v_mul_f16_sdwa v3, v27, v10 dst_sel:DWORD dst_unused:UNUSED_PAD src0_sel:WORD_1 src1_sel:DWORD
	v_fma_f16 v2, v27, v10, v2
	;; [unrolled: 17-line block ×4, first 2 shown]
	v_fma_f16 v1, v23, v1, -v3
	v_pack_b32_f16 v1, v2, v1
	ds_write2_b32 v21, v0, v1 offset0:238 offset1:255
	s_waitcnt vmcnt(1)
	v_lshrrev_b32_e32 v0, 16, v15
	s_waitcnt vmcnt(0)
	v_mul_f16_sdwa v1, v22, v0 dst_sel:DWORD dst_unused:UNUSED_PAD src0_sel:WORD_1 src1_sel:DWORD
	v_mul_f16_sdwa v2, v22, v15 dst_sel:DWORD dst_unused:UNUSED_PAD src0_sel:WORD_1 src1_sel:DWORD
	v_fma_f16 v1, v22, v15, v1
	v_fma_f16 v0, v22, v0, -v2
	v_pack_b32_f16 v0, v1, v0
	ds_write_b32 v21, v0 offset:1088
	s_waitcnt lgkmcnt(0)
	s_barrier
	ds_read2_b32 v[0:1], v21 offset1:17
	ds_read2_b32 v[46:47], v21 offset0:34 offset1:51
	ds_read2_b32 v[48:49], v21 offset0:68 offset1:85
	;; [unrolled: 1-line block ×3, first 2 shown]
	ds_read_b32 v45, v21 offset:1088
	ds_read2_b32 v[2:3], v21 offset0:136 offset1:153
	ds_read2_b32 v[52:53], v21 offset0:170 offset1:187
	;; [unrolled: 1-line block ×4, first 2 shown]
	s_waitcnt lgkmcnt(8)
	v_add_f16_e32 v18, v1, v0
	v_add_f16_sdwa v58, v1, v0 dst_sel:DWORD dst_unused:UNUSED_PAD src0_sel:WORD_1 src1_sel:WORD_1
	s_waitcnt lgkmcnt(7)
	v_add_f16_e32 v18, v18, v46
	s_waitcnt lgkmcnt(1)
	v_add_f16_e32 v19, v55, v46
	v_add_f16_sdwa v41, v55, v46 dst_sel:DWORD dst_unused:UNUSED_PAD src0_sel:WORD_1 src1_sel:WORD_1
	v_sub_f16_e32 v20, v46, v55
	v_sub_f16_sdwa v42, v46, v55 dst_sel:DWORD dst_unused:UNUSED_PAD src0_sel:WORD_1 src1_sel:WORD_1
	v_add_f16_sdwa v46, v58, v46 dst_sel:DWORD dst_unused:UNUSED_PAD src0_sel:DWORD src1_sel:WORD_1
	v_add_f16_e32 v18, v18, v47
	v_add_f16_sdwa v46, v46, v47 dst_sel:DWORD dst_unused:UNUSED_PAD src0_sel:DWORD src1_sel:WORD_1
	v_add_f16_e32 v18, v18, v48
	v_add_f16_sdwa v46, v46, v48 dst_sel:DWORD dst_unused:UNUSED_PAD src0_sel:DWORD src1_sel:WORD_1
	v_add_f16_e32 v18, v18, v49
	v_add_f16_sdwa v46, v46, v49 dst_sel:DWORD dst_unused:UNUSED_PAD src0_sel:DWORD src1_sel:WORD_1
	v_add_f16_e32 v18, v18, v50
	v_add_f16_sdwa v46, v46, v50 dst_sel:DWORD dst_unused:UNUSED_PAD src0_sel:DWORD src1_sel:WORD_1
	s_waitcnt lgkmcnt(0)
	v_add_f16_e32 v12, v57, v48
	v_add_f16_sdwa v14, v57, v48 dst_sel:DWORD dst_unused:UNUSED_PAD src0_sel:WORD_1 src1_sel:WORD_1
	v_sub_f16_e32 v13, v48, v57
	v_sub_f16_sdwa v15, v48, v57 dst_sel:DWORD dst_unused:UNUSED_PAD src0_sel:WORD_1 src1_sel:WORD_1
	v_add_f16_e32 v48, v18, v51
	v_add_f16_sdwa v46, v46, v51 dst_sel:DWORD dst_unused:UNUSED_PAD src0_sel:DWORD src1_sel:WORD_1
	v_add_f16_e32 v48, v48, v2
	v_add_f16_sdwa v46, v46, v2 dst_sel:DWORD dst_unused:UNUSED_PAD src0_sel:DWORD src1_sel:WORD_1
	;; [unrolled: 2-line block ×5, first 2 shown]
	v_sub_f16_e32 v43, v1, v45
	v_add_f16_e32 v48, v48, v56
	v_add_f16_sdwa v46, v46, v56 dst_sel:DWORD dst_unused:UNUSED_PAD src0_sel:DWORD src1_sel:WORD_1
	v_add_f16_e32 v40, v45, v1
	v_add_f16_sdwa v44, v45, v1 dst_sel:DWORD dst_unused:UNUSED_PAD src0_sel:WORD_1 src1_sel:WORD_1
	v_add_f16_e32 v48, v48, v57
	v_add_f16_sdwa v46, v46, v57 dst_sel:DWORD dst_unused:UNUSED_PAD src0_sel:DWORD src1_sel:WORD_1
	v_sub_f16_sdwa v1, v1, v45 dst_sel:DWORD dst_unused:UNUSED_PAD src0_sel:WORD_1 src1_sel:WORD_1
	v_mul_f16_e32 v58, 0xb5c8, v43
	v_mul_f16_e32 v62, 0xb964, v43
	;; [unrolled: 1-line block ×7, first 2 shown]
	v_add_f16_e32 v8, v53, v50
	v_add_f16_sdwa v10, v53, v50 dst_sel:DWORD dst_unused:UNUSED_PAD src0_sel:WORD_1 src1_sel:WORD_1
	v_sub_f16_e32 v9, v50, v53
	v_sub_f16_sdwa v11, v50, v53 dst_sel:DWORD dst_unused:UNUSED_PAD src0_sel:WORD_1 src1_sel:WORD_1
	v_add_f16_e32 v5, v52, v51
	v_add_f16_sdwa v7, v52, v51 dst_sel:DWORD dst_unused:UNUSED_PAD src0_sel:WORD_1 src1_sel:WORD_1
	v_sub_f16_e32 v6, v51, v52
	v_sub_f16_sdwa v18, v51, v52 dst_sel:DWORD dst_unused:UNUSED_PAD src0_sel:WORD_1 src1_sel:WORD_1
	;; [unrolled: 4-line block ×4, first 2 shown]
	v_add_f16_e32 v48, v48, v54
	v_add_f16_sdwa v46, v46, v54 dst_sel:DWORD dst_unused:UNUSED_PAD src0_sel:DWORD src1_sel:WORD_1
	v_mul_f16_e32 v54, 0xb5c8, v1
	v_fma_f16 v59, v44, s16, v58
	v_fma_f16 v58, v44, s16, -v58
	v_mul_f16_e32 v60, 0xb964, v1
	v_fma_f16 v63, v44, s15, v62
	v_fma_f16 v62, v44, s15, -v62
	;; [unrolled: 3-line block ×6, first 2 shown]
	v_fma_f16 v81, v44, s18, v80
	v_fma_f16 v80, v44, s18, -v80
	v_pack_b32_f16 v44, v44, v1
	v_mul_f16_e32 v1, 0xb836, v1
	v_add_f16_e32 v48, v48, v55
	v_add_f16_sdwa v46, v46, v55 dst_sel:DWORD dst_unused:UNUSED_PAD src0_sel:DWORD src1_sel:WORD_1
	v_fma_f16 v55, v40, s16, -v54
	v_fma_f16 v54, v40, s16, v54
	v_fma_f16 v61, v40, s15, -v60
	v_fma_f16 v60, v40, s15, v60
	;; [unrolled: 2-line block ×7, first 2 shown]
	v_pack_b32_f16 v40, v43, v40
	v_pk_mul_f16 v40, v40, s20
	v_pk_fma_f16 v43, v44, s19, v40 neg_lo:[1,0,0] neg_hi:[1,0,0]
	v_pk_fma_f16 v83, v44, s19, v40
	v_pk_fma_f16 v40, v44, s19, v40 neg_lo:[0,0,1] neg_hi:[0,0,1]
	v_add_f16_e32 v55, v55, v0
	v_add_f16_sdwa v59, v59, v0 dst_sel:DWORD dst_unused:UNUSED_PAD src0_sel:DWORD src1_sel:WORD_1
	v_add_f16_e32 v54, v54, v0
	v_add_f16_sdwa v58, v58, v0 dst_sel:DWORD dst_unused:UNUSED_PAD src0_sel:DWORD src1_sel:WORD_1
	;; [unrolled: 2-line block ×14, first 2 shown]
	v_pk_add_f16 v85, v43, v0 op_sel:[0,1] op_sel_hi:[1,0]
	v_pk_add_f16 v83, v83, v0 op_sel:[0,1] op_sel_hi:[1,0]
	;; [unrolled: 1-line block ×3, first 2 shown]
	v_mul_lo_u16_e32 v0, 17, v38
	v_add_f16_e32 v1, v3, v2
	v_add_f16_sdwa v44, v3, v2 dst_sel:DWORD dst_unused:UNUSED_PAD src0_sel:WORD_1 src1_sel:WORD_1
	v_sub_f16_e32 v43, v2, v3
	v_sub_f16_sdwa v2, v2, v3 dst_sel:DWORD dst_unused:UNUSED_PAD src0_sel:WORD_1 src1_sel:WORD_1
	v_lshl_add_u32 v40, v0, 2, v4
	v_add_f16_e32 v0, v48, v45
	v_add_f16_sdwa v3, v46, v45 dst_sel:WORD_1 dst_unused:UNUSED_PAD src0_sel:DWORD src1_sel:WORD_1
	v_or_b32_e32 v0, v3, v0
	v_mul_f16_e32 v3, 0xb964, v42
	v_fma_f16 v4, v19, s15, -v3
	v_mul_f16_e32 v45, 0xb964, v20
	v_add_f16_e32 v4, v4, v55
	v_fma_f16 v46, v41, s15, v45
	v_fma_f16 v3, v19, s15, v3
	v_fma_f16 v45, v41, s15, -v45
	v_mul_f16_e32 v48, 0xbbf7, v42
	v_mul_f16_e32 v55, 0xbbf7, v20
	v_add_f16_e32 v46, v46, v59
	v_add_f16_e32 v3, v3, v54
	v_add_f16_e32 v45, v45, v58
	v_fma_f16 v54, v19, s12, -v48
	v_fma_f16 v58, v41, s12, v55
	v_fma_f16 v48, v19, s12, v48
	v_mul_f16_e32 v59, 0xba62, v42
	v_add_f16_e32 v54, v54, v61
	v_add_f16_e32 v58, v58, v63
	;; [unrolled: 1-line block ×3, first 2 shown]
	v_fma_f16 v55, v41, s12, -v55
	v_fma_f16 v60, v19, s17, -v59
	v_mul_f16_e32 v61, 0xba62, v20
	v_fma_f16 v59, v19, s17, v59
	s_mov_b32 s19, 0xbbdd
	v_mul_f16_e32 v63, 0xb1e1, v42
	v_add_f16_e32 v55, v55, v62
	v_add_f16_e32 v60, v60, v65
	v_fma_f16 v62, v41, s17, v61
	v_add_f16_e32 v59, v59, v64
	v_fma_f16 v61, v41, s17, -v61
	v_fma_f16 v64, v19, s19, -v63
	v_mul_f16_e32 v65, 0xb1e1, v20
	v_add_f16_e32 v62, v62, v67
	v_add_f16_e32 v61, v61, v66
	;; [unrolled: 1-line block ×3, first 2 shown]
	v_fma_f16 v66, v41, s19, v65
	v_fma_f16 v63, v19, s19, v63
	v_fma_f16 v65, v41, s19, -v65
	v_mul_f16_e32 v67, 0x3836, v42
	v_mul_f16_e32 v69, 0x3836, v20
	v_add_f16_e32 v66, v66, v71
	v_add_f16_e32 v63, v63, v68
	;; [unrolled: 1-line block ×3, first 2 shown]
	v_fma_f16 v68, v19, s18, -v67
	v_fma_f16 v70, v41, s18, v69
	v_fma_f16 v67, v19, s18, v67
	v_mul_f16_e32 v71, 0x3bb2, v42
	v_add_f16_e32 v68, v68, v73
	v_add_f16_e32 v70, v70, v75
	;; [unrolled: 1-line block ×3, first 2 shown]
	v_fma_f16 v69, v41, s18, -v69
	v_fma_f16 v72, v19, s14, -v71
	v_mul_f16_e32 v73, 0x3bb2, v20
	v_fma_f16 v71, v19, s14, v71
	v_mul_f16_e32 v75, 0x3b29, v42
	v_add_f16_e32 v69, v69, v74
	v_add_f16_e32 v72, v72, v77
	v_fma_f16 v74, v41, s14, v73
	v_add_f16_e32 v71, v71, v76
	v_fma_f16 v73, v41, s14, -v73
	v_fma_f16 v76, v19, s13, -v75
	v_mul_f16_e32 v77, 0x3b29, v20
	v_fma_f16 v75, v19, s13, v75
	v_pack_b32_f16 v19, v20, v19
	v_add_f16_e32 v73, v73, v78
	v_fma_f16 v78, v41, s13, v77
	v_fma_f16 v77, v41, s13, -v77
	v_pack_b32_f16 v41, v41, v42
	s_mov_b32 s20, 0x35c83b76
	v_pk_mul_f16 v19, v19, s21
	v_pk_fma_f16 v20, v41, s20, v19 neg_lo:[1,0,0] neg_hi:[1,0,0]
	v_pk_fma_f16 v42, v41, s20, v19
	v_pk_fma_f16 v19, v41, s20, v19 neg_lo:[0,0,1] neg_hi:[0,0,1]
	v_mul_f16_e32 v41, 0xbb29, v47
	v_add_f16_e32 v74, v74, v79
	v_fma_f16 v79, v53, s13, -v41
	v_add_f16_e32 v4, v79, v4
	v_mul_f16_e32 v79, 0xbb29, v57
	v_fma_f16 v41, v53, s13, v41
	v_add_f16_e32 v3, v41, v3
	v_fma_f16 v41, v56, s13, -v79
	v_add_f16_e32 v41, v41, v45
	v_mul_f16_e32 v45, 0xba62, v47
	v_add_f16_e32 v77, v77, v80
	v_fma_f16 v80, v56, s13, v79
	v_fma_f16 v79, v53, s17, -v45
	v_add_f16_e32 v54, v79, v54
	v_mul_f16_e32 v79, 0xba62, v57
	v_fma_f16 v45, v53, s17, v45
	v_add_f16_e32 v45, v45, v48
	v_fma_f16 v48, v56, s17, -v79
	v_add_f16_e32 v48, v48, v55
	v_mul_f16_e32 v55, 0x31e1, v47
	v_add_f16_e32 v46, v80, v46
	v_fma_f16 v80, v56, s17, v79
	;; [unrolled: 10-line block ×5, first 2 shown]
	v_fma_f16 v79, v53, s16, -v69
	v_add_f16_e32 v72, v79, v72
	v_mul_f16_e32 v79, 0xb5c8, v57
	v_fma_f16 v69, v53, s16, v69
	v_add_f16_e32 v69, v69, v71
	v_fma_f16 v71, v56, s16, -v79
	v_add_f16_e32 v71, v71, v73
	v_mul_f16_e32 v73, 0xbbf7, v47
	v_add_f16_e32 v76, v76, v82
	v_add_f16_e32 v70, v80, v70
	v_fma_f16 v80, v56, s16, v79
	v_fma_f16 v79, v53, s12, -v73
	v_fma_f16 v73, v53, s12, v73
	v_pack_b32_f16 v53, v57, v53
	s_mov_b32 s21, 0xbacdb836
	v_add_f16_e32 v75, v75, v84
	v_add_f16_e32 v76, v79, v76
	v_mul_f16_e32 v79, 0xbbf7, v57
	v_pack_b32_f16 v47, v56, v47
	s_mov_b32 s20, 0xb836bacd
	v_pk_mul_f16 v53, v53, s21
	v_pk_add_f16 v20, v20, v85
	v_add_f16_e32 v74, v80, v74
	v_fma_f16 v80, v56, s12, v79
	v_add_f16_e32 v73, v73, v75
	v_fma_f16 v75, v56, s12, -v79
	v_pk_fma_f16 v56, v47, s20, v53 neg_lo:[1,0,0] neg_hi:[1,0,0]
	v_pk_add_f16 v19, v19, v86
	v_pk_add_f16 v20, v56, v20
	v_pk_fma_f16 v56, v47, s20, v53
	v_pk_fma_f16 v47, v47, s20, v53 neg_lo:[0,0,1] neg_hi:[0,0,1]
	v_pk_add_f16 v19, v47, v19
	v_mul_f16_e32 v47, 0xbbf7, v15
	v_fma_f16 v53, v12, s12, -v47
	v_add_f16_e32 v4, v53, v4
	v_mul_f16_e32 v53, 0xbbf7, v13
	v_fma_f16 v47, v12, s12, v47
	v_add_f16_e32 v3, v47, v3
	v_fma_f16 v47, v14, s12, -v53
	v_pk_add_f16 v42, v42, v83
	v_add_f16_e32 v41, v47, v41
	v_mul_f16_e32 v47, 0xb1e1, v15
	v_pk_add_f16 v42, v56, v42
	v_fma_f16 v56, v14, s12, v53
	v_fma_f16 v53, v12, s19, -v47
	v_add_f16_e32 v53, v53, v54
	v_mul_f16_e32 v54, 0xb1e1, v13
	v_fma_f16 v47, v12, s19, v47
	v_add_f16_e32 v45, v47, v45
	v_fma_f16 v47, v14, s19, -v54
	v_add_f16_e32 v47, v47, v48
	v_mul_f16_e32 v48, 0x3bb2, v15
	v_add_f16_e32 v46, v56, v46
	v_fma_f16 v56, v14, s19, v54
	v_fma_f16 v54, v12, s14, -v48
	v_mul_f16_e32 v57, 0x3bb2, v13
	v_fma_f16 v48, v12, s14, v48
	v_add_f16_e32 v56, v56, v58
	v_fma_f16 v58, v14, s14, v57
	v_add_f16_e32 v48, v48, v55
	v_fma_f16 v55, v14, s14, -v57
	v_mul_f16_e32 v57, 0x35c8, v15
	v_add_f16_e32 v54, v54, v60
	v_add_f16_e32 v55, v55, v59
	v_fma_f16 v59, v12, s16, -v57
	v_mul_f16_e32 v60, 0x35c8, v13
	v_fma_f16 v57, v12, s16, v57
	v_add_f16_e32 v58, v58, v62
	v_fma_f16 v62, v14, s16, v60
	v_add_f16_e32 v57, v57, v61
	v_fma_f16 v60, v14, s16, -v60
	v_mul_f16_e32 v61, 0xbb29, v15
	v_add_f16_e32 v59, v59, v64
	v_add_f16_e32 v60, v60, v63
	v_fma_f16 v63, v12, s13, -v61
	v_mul_f16_e32 v64, 0xbb29, v13
	v_fma_f16 v61, v12, s13, v61
	v_add_f16_e32 v62, v62, v66
	v_fma_f16 v66, v14, s13, v64
	v_add_f16_e32 v61, v61, v65
	v_fma_f16 v64, v14, s13, -v64
	v_mul_f16_e32 v65, 0xb836, v15
	v_add_f16_e32 v63, v63, v68
	v_add_f16_e32 v64, v64, v67
	v_fma_f16 v67, v12, s18, -v65
	v_mul_f16_e32 v68, 0xb836, v13
	v_fma_f16 v65, v12, s18, v65
	v_add_f16_e32 v66, v66, v70
	v_fma_f16 v70, v14, s18, v68
	v_add_f16_e32 v65, v65, v69
	v_fma_f16 v68, v14, s18, -v68
	v_mul_f16_e32 v69, 0x3a62, v15
	v_add_f16_e32 v67, v67, v72
	v_add_f16_e32 v68, v68, v71
	v_fma_f16 v71, v12, s17, -v69
	v_mul_f16_e32 v72, 0x3a62, v13
	v_fma_f16 v69, v12, s17, v69
	v_pack_b32_f16 v12, v13, v12
	s_mov_b32 s21, 0x39e93964
	v_add_f16_e32 v70, v70, v74
	v_fma_f16 v74, v14, s17, v72
	v_fma_f16 v72, v14, s17, -v72
	v_pack_b32_f16 v14, v14, v15
	s_mov_b32 s20, 0x396439e9
	v_pk_mul_f16 v12, v12, s21
	v_pk_fma_f16 v13, v14, s20, v12 neg_lo:[1,0,0] neg_hi:[1,0,0]
	v_pk_fma_f16 v15, v14, s20, v12
	v_pk_fma_f16 v12, v14, s20, v12 neg_lo:[0,0,1] neg_hi:[0,0,1]
	v_mul_f16_e32 v14, 0xbbb2, v49
	v_pk_add_f16 v12, v12, v19
	v_fma_f16 v19, v50, s14, -v14
	v_add_f16_e32 v4, v19, v4
	v_mul_f16_e32 v19, 0xbbb2, v52
	v_fma_f16 v14, v50, s14, v14
	v_pk_add_f16 v13, v13, v20
	v_fma_f16 v20, v51, s14, v19
	v_add_f16_e32 v3, v14, v3
	v_fma_f16 v14, v51, s14, -v19
	v_mul_f16_e32 v19, 0x3836, v49
	v_pk_add_f16 v15, v15, v42
	v_add_f16_e32 v14, v14, v41
	v_fma_f16 v41, v50, s18, -v19
	v_mul_f16_e32 v42, 0x3836, v52
	v_fma_f16 v19, v50, s18, v19
	v_add_f16_e32 v20, v20, v46
	v_fma_f16 v46, v51, s18, v42
	v_add_f16_e32 v19, v19, v45
	v_fma_f16 v42, v51, s18, -v42
	v_mul_f16_e32 v45, 0x3964, v49
	v_add_f16_e32 v41, v41, v53
	v_add_f16_e32 v42, v42, v47
	v_fma_f16 v47, v50, s15, -v45
	v_mul_f16_e32 v53, 0x3964, v52
	v_fma_f16 v45, v50, s15, v45
	v_add_f16_e32 v47, v47, v54
	v_fma_f16 v54, v51, s15, v53
	v_add_f16_e32 v45, v45, v48
	v_fma_f16 v48, v51, s15, -v53
	v_mul_f16_e32 v53, 0xbb29, v49
	v_add_f16_e32 v48, v48, v55
	v_fma_f16 v55, v50, s13, -v53
	v_fma_f16 v53, v50, s13, v53
	v_add_f16_e32 v46, v46, v56
	v_mul_f16_e32 v56, 0xbb29, v52
	v_add_f16_e32 v53, v53, v57
	v_mul_f16_e32 v57, 0xb1e1, v49
	v_add_f16_e32 v54, v54, v58
	v_add_f16_e32 v55, v55, v59
	v_fma_f16 v58, v51, s13, v56
	v_fma_f16 v56, v51, s13, -v56
	v_fma_f16 v59, v50, s19, -v57
	v_fma_f16 v57, v50, s19, v57
	v_add_f16_e32 v56, v56, v60
	v_mul_f16_e32 v60, 0xb1e1, v52
	v_add_f16_e32 v57, v57, v61
	v_mul_f16_e32 v61, 0x3bf7, v49
	v_add_f16_e32 v58, v58, v62
	v_add_f16_e32 v59, v59, v63
	v_fma_f16 v62, v51, s19, v60
	v_fma_f16 v60, v51, s19, -v60
	;; [unrolled: 10-line block ×3, first 2 shown]
	v_fma_f16 v67, v50, s16, -v65
	v_fma_f16 v65, v50, s16, v65
	v_pack_b32_f16 v50, v52, v50
	s_mov_b32 s21, 0xb8d2ba62
	v_add_f16_e32 v64, v64, v68
	v_mul_f16_e32 v68, 0xb5c8, v52
	v_pack_b32_f16 v49, v51, v49
	s_mov_b32 s20, 0xba62b8d2
	v_pk_mul_f16 v50, v50, s21
	v_add_f16_e32 v66, v66, v70
	v_fma_f16 v70, v51, s16, v68
	v_fma_f16 v68, v51, s16, -v68
	v_pk_fma_f16 v51, v49, s20, v50 neg_lo:[1,0,0] neg_hi:[1,0,0]
	v_pk_add_f16 v13, v51, v13
	v_pk_fma_f16 v51, v49, s20, v50
	v_pk_fma_f16 v49, v49, s20, v50 neg_lo:[0,0,1] neg_hi:[0,0,1]
	v_pk_add_f16 v12, v49, v12
	v_mul_f16_e32 v49, 0xba62, v11
	v_fma_f16 v50, v8, s17, -v49
	v_add_f16_e32 v4, v50, v4
	v_mul_f16_e32 v50, 0xba62, v9
	v_fma_f16 v49, v8, s17, v49
	v_add_f16_e32 v3, v49, v3
	v_fma_f16 v49, v10, s17, -v50
	v_add_f16_e32 v14, v49, v14
	v_mul_f16_e32 v49, 0x3bb2, v11
	v_pk_add_f16 v15, v51, v15
	v_fma_f16 v51, v10, s17, v50
	v_fma_f16 v50, v8, s14, -v49
	v_add_f16_e32 v41, v50, v41
	v_mul_f16_e32 v50, 0x3bb2, v9
	v_fma_f16 v49, v8, s14, v49
	v_add_f16_e32 v19, v49, v19
	v_fma_f16 v49, v10, s14, -v50
	v_add_f16_e32 v42, v49, v42
	v_mul_f16_e32 v49, 0xb5c8, v11
	v_add_f16_e32 v20, v51, v20
	v_fma_f16 v51, v10, s14, v50
	v_fma_f16 v50, v8, s16, -v49
	v_add_f16_e32 v47, v50, v47
	v_mul_f16_e32 v50, 0xb5c8, v9
	v_fma_f16 v49, v8, s16, v49
	v_add_f16_e32 v45, v49, v45
	v_fma_f16 v49, v10, s16, -v50
	v_add_f16_e32 v48, v49, v48
	v_mul_f16_e32 v49, 0xb836, v11
	v_add_f16_e32 v46, v51, v46
	v_fma_f16 v51, v10, s16, v50
	v_fma_f16 v50, v8, s18, -v49
	v_mul_f16_e32 v52, 0xb836, v9
	v_fma_f16 v49, v8, s18, v49
	v_add_f16_e32 v51, v51, v54
	v_fma_f16 v54, v10, s18, v52
	v_add_f16_e32 v49, v49, v53
	v_fma_f16 v52, v10, s18, -v52
	v_mul_f16_e32 v53, 0x3bf7, v11
	v_add_f16_e32 v50, v50, v55
	v_add_f16_e32 v52, v52, v56
	v_fma_f16 v55, v8, s12, -v53
	v_mul_f16_e32 v56, 0x3bf7, v9
	v_fma_f16 v53, v8, s12, v53
	v_add_f16_e32 v54, v54, v58
	v_fma_f16 v58, v10, s12, v56
	v_add_f16_e32 v53, v53, v57
	v_fma_f16 v56, v10, s12, -v56
	v_mul_f16_e32 v57, 0xb964, v11
	v_add_f16_e32 v55, v55, v59
	v_add_f16_e32 v56, v56, v60
	v_fma_f16 v59, v8, s15, -v57
	v_mul_f16_e32 v60, 0xb964, v9
	v_fma_f16 v57, v8, s15, v57
	v_add_f16_e32 v58, v58, v62
	v_fma_f16 v62, v10, s15, v60
	v_add_f16_e32 v57, v57, v61
	v_fma_f16 v60, v10, s15, -v60
	v_mul_f16_e32 v61, 0xb1e1, v11
	v_add_f16_e32 v59, v59, v63
	v_add_f16_e32 v60, v60, v64
	v_fma_f16 v63, v8, s19, -v61
	v_mul_f16_e32 v64, 0xb1e1, v9
	v_fma_f16 v61, v8, s19, v61
	v_pack_b32_f16 v8, v9, v8
	s_mov_b32 s21, 0x37223b29
	v_add_f16_e32 v62, v62, v66
	v_fma_f16 v66, v10, s19, v64
	v_fma_f16 v64, v10, s19, -v64
	v_pack_b32_f16 v10, v10, v11
	s_mov_b32 s20, 0x3b293722
	v_pk_mul_f16 v8, v8, s21
	v_pk_fma_f16 v9, v10, s20, v8 neg_lo:[1,0,0] neg_hi:[1,0,0]
	v_pk_fma_f16 v11, v10, s20, v8
	v_pk_fma_f16 v8, v10, s20, v8 neg_lo:[0,0,1] neg_hi:[0,0,1]
	v_mul_f16_e32 v10, 0xb836, v18
	v_pk_add_f16 v8, v8, v12
	v_fma_f16 v12, v5, s18, -v10
	v_add_f16_e32 v4, v12, v4
	v_mul_f16_e32 v12, 0xb836, v6
	v_fma_f16 v10, v5, s18, v10
	v_pk_add_f16 v9, v9, v13
	v_fma_f16 v13, v7, s18, v12
	v_add_f16_e32 v3, v10, v3
	v_fma_f16 v10, v7, s18, -v12
	v_mul_f16_e32 v12, 0x3b29, v18
	v_pk_add_f16 v11, v11, v15
	v_add_f16_e32 v10, v10, v14
	v_fma_f16 v14, v5, s13, -v12
	v_mul_f16_e32 v15, 0x3b29, v6
	v_fma_f16 v12, v5, s13, v12
	v_add_f16_e32 v13, v13, v20
	v_fma_f16 v20, v7, s13, v15
	v_add_f16_e32 v12, v12, v19
	v_fma_f16 v15, v7, s13, -v15
	v_mul_f16_e32 v19, 0xbbf7, v18
	v_add_f16_e32 v14, v14, v41
	v_add_f16_e32 v15, v15, v42
	v_fma_f16 v41, v5, s12, -v19
	v_mul_f16_e32 v42, 0xbbf7, v6
	v_fma_f16 v19, v5, s12, v19
	v_add_f16_e32 v20, v20, v46
	v_fma_f16 v46, v7, s12, v42
	v_add_f16_e32 v19, v19, v45
	v_fma_f16 v42, v7, s12, -v42
	v_mul_f16_e32 v45, 0x3a62, v18
	v_add_f16_e32 v41, v41, v47
	v_add_f16_e32 v42, v42, v48
	v_fma_f16 v47, v5, s17, -v45
	v_mul_f16_e32 v48, 0x3a62, v6
	v_fma_f16 v45, v5, s17, v45
	v_add_f16_e32 v47, v47, v50
	v_fma_f16 v50, v7, s17, v48
	v_add_f16_e32 v45, v45, v49
	v_fma_f16 v48, v7, s17, -v48
	v_mul_f16_e32 v49, 0xb5c8, v18
	v_add_f16_e32 v46, v46, v51
	v_add_f16_e32 v48, v48, v52
	v_fma_f16 v51, v5, s16, -v49
	v_mul_f16_e32 v52, 0xb5c8, v6
	v_fma_f16 v49, v5, s16, v49
	v_add_f16_e32 v50, v50, v54
	v_fma_f16 v54, v7, s16, v52
	v_add_f16_e32 v49, v49, v53
	v_fma_f16 v52, v7, s16, -v52
	v_mul_f16_e32 v53, 0xb1e1, v18
	v_add_f16_e32 v51, v51, v55
	v_add_f16_e32 v52, v52, v56
	v_fma_f16 v55, v5, s19, -v53
	v_mul_f16_e32 v56, 0xb1e1, v6
	v_fma_f16 v53, v5, s19, v53
	v_add_f16_e32 v54, v54, v58
	v_fma_f16 v58, v7, s19, v56
	v_add_f16_e32 v53, v53, v57
	v_fma_f16 v56, v7, s19, -v56
	v_mul_f16_e32 v57, 0x3964, v18
	v_add_f16_e32 v55, v55, v59
	v_add_f16_e32 v56, v56, v60
	v_fma_f16 v59, v5, s15, -v57
	v_mul_f16_e32 v60, 0x3964, v6
	v_fma_f16 v57, v5, s15, v57
	v_pack_b32_f16 v5, v6, v5
	s_mov_b32 s21, 0xb461bbb2
	v_add_f16_e32 v58, v58, v62
	v_fma_f16 v62, v7, s15, v60
	v_fma_f16 v60, v7, s15, -v60
	v_pack_b32_f16 v7, v7, v18
	s_mov_b32 s20, 0xbbb2b461
	v_pk_mul_f16 v5, v5, s21
	v_pk_fma_f16 v6, v7, s20, v5 neg_lo:[1,0,0] neg_hi:[1,0,0]
	v_pk_add_f16 v6, v6, v9
	v_pk_fma_f16 v9, v7, s20, v5
	v_pk_fma_f16 v5, v7, s20, v5 neg_lo:[0,0,1] neg_hi:[0,0,1]
	v_mul_f16_e32 v7, 0xb1e1, v2
	v_pk_add_f16 v5, v5, v8
	v_fma_f16 v8, v1, s19, -v7
	v_add_f16_e32 v4, v8, v4
	v_mul_f16_e32 v8, 0xb1e1, v43
	v_fma_f16 v7, v1, s19, v7
	v_pk_add_f16 v9, v9, v11
	v_fma_f16 v11, v44, s19, v8
	v_add_f16_e32 v3, v7, v3
	v_fma_f16 v7, v44, s19, -v8
	v_mul_f16_e32 v8, 0x35c8, v2
	v_add_f16_e32 v11, v11, v13
	v_add_f16_e32 v7, v7, v10
	v_fma_f16 v10, v1, s16, -v8
	v_mul_f16_e32 v13, 0x35c8, v43
	v_fma_f16 v8, v1, s16, v8
	v_add_f16_e32 v10, v10, v14
	v_fma_f16 v14, v44, s16, v13
	v_add_f16_e32 v8, v8, v12
	v_fma_f16 v12, v44, s16, -v13
	v_mul_f16_e32 v13, 0xb836, v2
	v_add_f16_e32 v12, v12, v15
	v_fma_f16 v15, v1, s18, -v13
	v_fma_f16 v13, v1, s18, v13
	v_add_f16_e32 v13, v13, v19
	v_mul_f16_e32 v19, 0x3964, v2
	v_add_f16_e32 v15, v15, v41
	v_mul_f16_e32 v18, 0xb836, v43
	v_fma_f16 v41, v1, s15, -v19
	v_fma_f16 v19, v1, s15, v19
	v_add_f16_e32 v14, v14, v20
	v_fma_f16 v20, v44, s18, v18
	v_fma_f16 v18, v44, s18, -v18
	v_add_f16_e32 v19, v19, v45
	v_mul_f16_e32 v45, 0xba62, v2
	v_add_f16_e32 v18, v18, v42
	v_add_f16_e32 v41, v41, v47
	v_mul_f16_e32 v42, 0x3964, v43
	v_fma_f16 v47, v1, s17, -v45
	v_fma_f16 v45, v1, s17, v45
	v_add_f16_e32 v20, v20, v46
	v_fma_f16 v46, v44, s15, v42
	v_fma_f16 v42, v44, s15, -v42
	v_add_f16_e32 v45, v45, v49
	v_mul_f16_e32 v49, 0x3b29, v2
	v_add_f16_e32 v42, v42, v48
	v_add_f16_e32 v47, v47, v51
	v_mul_f16_e32 v48, 0xba62, v43
	v_fma_f16 v51, v1, s13, -v49
	v_fma_f16 v49, v1, s13, v49
	v_add_f16_e32 v78, v78, v81
	v_add_f16_e32 v46, v46, v50
	v_fma_f16 v50, v44, s17, v48
	v_fma_f16 v48, v44, s17, -v48
	v_add_f16_e32 v49, v49, v53
	v_mul_f16_e32 v53, 0xbbb2, v2
	v_add_f16_e32 v78, v80, v78
	v_add_f16_e32 v48, v48, v52
	;; [unrolled: 1-line block ×3, first 2 shown]
	v_mul_f16_e32 v52, 0x3b29, v43
	v_fma_f16 v55, v1, s14, -v53
	v_fma_f16 v53, v1, s14, v53
	v_pack_b32_f16 v1, v43, v1
	s_mov_b32 s21, 0x2de83bf7
	v_add_f16_e32 v71, v71, v76
	v_add_f16_e32 v74, v74, v78
	;; [unrolled: 1-line block ×3, first 2 shown]
	v_fma_f16 v54, v44, s13, v52
	v_fma_f16 v52, v44, s13, -v52
	v_pack_b32_f16 v2, v44, v2
	s_mov_b32 s20, 0x3bf72de8
	v_pk_mul_f16 v1, v1, s21
	v_add_f16_e32 v75, v75, v77
	v_add_f16_e32 v67, v67, v71
	;; [unrolled: 1-line block ×4, first 2 shown]
	v_mul_f16_e32 v56, 0xbbb2, v43
	v_pk_fma_f16 v43, v2, s20, v1 neg_lo:[1,0,0] neg_hi:[1,0,0]
	v_add_f16_e32 v69, v69, v73
	v_add_f16_e32 v72, v72, v75
	;; [unrolled: 1-line block ×4, first 2 shown]
	v_pk_add_f16 v6, v43, v6
	v_pk_fma_f16 v43, v2, s20, v1
	v_pk_fma_f16 v1, v2, s20, v1 neg_lo:[0,0,1] neg_hi:[0,0,1]
	v_pack_b32_f16 v2, v10, v14
	v_pack_b32_f16 v4, v4, v11
	v_add_f16_e32 v65, v65, v69
	v_add_f16_e32 v68, v68, v72
	;; [unrolled: 1-line block ×5, first 2 shown]
	v_fma_f16 v58, v44, s14, v56
	s_barrier
	ds_write2_b32 v40, v4, v2 offset0:1 offset1:2
	v_pack_b32_f16 v2, v41, v46
	v_pack_b32_f16 v4, v15, v20
	v_add_f16_e32 v61, v61, v65
	v_add_f16_e32 v64, v64, v68
	;; [unrolled: 1-line block ×4, first 2 shown]
	ds_write2_b32 v40, v4, v2 offset0:3 offset1:4
	v_pack_b32_f16 v2, v51, v54
	v_pack_b32_f16 v4, v47, v50
	v_add_f16_e32 v57, v57, v61
	v_add_f16_e32 v60, v60, v64
	v_fma_f16 v56, v44, s14, -v56
	v_pk_add_f16 v9, v43, v9
	v_pk_add_f16 v1, v1, v5
	ds_write2_b32 v40, v4, v2 offset0:5 offset1:6
	v_pack_b32_f16 v2, v55, v58
	v_add_f16_e32 v53, v53, v57
	v_add_f16_e32 v56, v56, v60
	ds_write2_b32 v40, v0, v2 offset1:7
	v_alignbit_b32 v0, v1, v9, 16
	v_alignbit_b32 v1, v9, v6, 16
	ds_write2_b32 v40, v1, v0 offset0:8 offset1:9
	v_pack_b32_f16 v0, v49, v52
	v_pack_b32_f16 v1, v53, v56
	ds_write2_b32 v40, v1, v0 offset0:10 offset1:11
	v_pack_b32_f16 v0, v19, v42
	v_pack_b32_f16 v1, v45, v48
	;; [unrolled: 3-line block ×3, first 2 shown]
	ds_write2_b32 v40, v1, v0 offset0:14 offset1:15
	v_pack_b32_f16 v0, v3, v7
	v_lshlrev_b32_e32 v12, 6, v38
	ds_write_b32 v40, v0 offset:64
	s_waitcnt lgkmcnt(0)
	s_barrier
	global_load_dwordx4 v[4:7], v12, s[2:3]
	global_load_dwordx4 v[0:3], v12, s[2:3] offset:48
	ds_read2_b32 v[18:19], v21 offset1:17
	ds_read_b32 v20, v21 offset:1088
	global_load_dwordx4 v[8:11], v12, s[2:3] offset:16
	s_mov_b32 s21, 0xb964
	s_movk_i32 s20, 0x3bf7
	s_waitcnt lgkmcnt(1)
	v_lshrrev_b32_e32 v13, 16, v19
	s_waitcnt lgkmcnt(0)
	v_lshrrev_b32_e32 v41, 16, v20
	s_waitcnt vmcnt(2)
	v_mul_f16_sdwa v14, v13, v4 dst_sel:DWORD dst_unused:UNUSED_PAD src0_sel:DWORD src1_sel:WORD_1
	v_fma_f16 v42, v19, v4, -v14
	v_mul_f16_sdwa v14, v19, v4 dst_sel:DWORD dst_unused:UNUSED_PAD src0_sel:DWORD src1_sel:WORD_1
	v_fma_f16 v19, v13, v4, v14
	global_load_dwordx4 v[12:15], v12, s[2:3] offset:32
	s_waitcnt vmcnt(2)
	v_mul_f16_sdwa v43, v41, v3 dst_sel:DWORD dst_unused:UNUSED_PAD src0_sel:DWORD src1_sel:WORD_1
	v_fma_f16 v68, v20, v3, -v43
	v_mul_f16_sdwa v20, v20, v3 dst_sel:DWORD dst_unused:UNUSED_PAD src0_sel:DWORD src1_sel:WORD_1
	v_fma_f16 v69, v41, v3, v20
	v_sub_f16_e32 v43, v19, v69
	v_add_f16_e32 v20, v42, v68
	v_mul_f16_e32 v50, 0xbbf7, v43
	v_fma_f16 v53, v20, s12, -v50
	v_fma_f16 v54, v20, s12, v50
	v_mul_f16_e32 v50, 0xbbb2, v43
	v_fma_f16 v59, v20, s14, -v50
	v_fma_f16 v64, v20, s14, v50
	v_mul_f16_e32 v50, 0xba62, v43
	v_mul_f16_e32 v44, 0xb5c8, v43
	;; [unrolled: 1-line block ×4, first 2 shown]
	v_fma_f16 v65, v20, s17, -v50
	v_fma_f16 v66, v20, s17, v50
	v_mul_f16_e32 v50, 0xb836, v43
	v_mul_f16_e32 v43, 0xb1e1, v43
	v_fma_f16 v45, v20, s16, -v44
	v_fma_f16 v44, v20, s16, v44
	v_fma_f16 v47, v20, s15, -v46
	v_fma_f16 v46, v20, s15, v46
	;; [unrolled: 2-line block ×5, first 2 shown]
	v_sub_f16_e32 v20, v42, v68
	v_add_f16_e32 v41, v19, v69
	v_mul_f16_e32 v55, 0xbb29, v20
	v_fma_f16 v57, v41, s13, v55
	v_fma_f16 v58, v41, s13, -v55
	v_mul_f16_e32 v55, 0xbbf7, v20
	v_fma_f16 v62, v41, s12, -v55
	v_add_f16_e32 v76, v49, v18
	v_add_f16_e32 v63, v53, v18
	v_add_f16_sdwa v53, v62, v18 dst_sel:DWORD dst_unused:UNUSED_PAD src0_sel:DWORD src1_sel:WORD_1
	v_add_f16_e32 v62, v59, v18
	v_add_f16_e32 v59, v64, v18
	;; [unrolled: 1-line block ×3, first 2 shown]
	ds_read2_b32 v[64:65], v21 offset0:34 offset1:51
	v_mul_f16_e32 v43, 0xb5c8, v20
	v_fma_f16 v60, v41, s12, v55
	v_mul_f16_e32 v55, 0xbbb2, v20
	v_fma_f16 v50, v41, s16, v43
	v_fma_f16 v43, v41, s16, -v43
	v_fma_f16 v73, v41, s14, v55
	v_fma_f16 v78, v41, s14, -v55
	v_mul_f16_e32 v55, 0xba62, v20
	v_add_f16_e32 v87, v45, v18
	v_add_f16_e32 v77, v47, v18
	v_add_f16_e32 v47, v66, v18
	v_add_f16_e32 v45, v67, v18
	s_waitcnt lgkmcnt(0)
	v_lshrrev_b32_e32 v66, 16, v64
	v_mul_f16_sdwa v67, v64, v5 dst_sel:DWORD dst_unused:UNUSED_PAD src0_sel:DWORD src1_sel:WORD_1
	v_mul_f16_e32 v51, 0xb964, v20
	v_fma_f16 v79, v41, s17, v55
	v_fma_f16 v80, v41, s17, -v55
	v_mul_f16_e32 v55, 0xb836, v20
	v_mul_f16_e32 v20, 0xb1e1, v20
	v_add_f16_sdwa v88, v50, v18 dst_sel:DWORD dst_unused:UNUSED_PAD src0_sel:DWORD src1_sel:WORD_1
	v_add_f16_sdwa v50, v43, v18 dst_sel:DWORD dst_unused:UNUSED_PAD src0_sel:DWORD src1_sel:WORD_1
	v_add_f16_e32 v43, v70, v18
	v_fma_f16 v70, v66, v5, v67
	v_mul_f16_sdwa v66, v66, v5 dst_sel:DWORD dst_unused:UNUSED_PAD src0_sel:DWORD src1_sel:WORD_1
	v_fma_f16 v52, v41, s15, v51
	v_fma_f16 v51, v41, s15, -v51
	v_fma_f16 v81, v41, s18, v55
	v_fma_f16 v82, v41, s18, -v55
	;; [unrolled: 2-line block ×3, first 2 shown]
	v_add_f16_e32 v41, v71, v18
	v_fma_f16 v71, v64, v5, -v66
	ds_read2_b32 v[66:67], v21 offset0:68 offset1:85
	v_lshrrev_b32_e32 v64, 16, v65
	v_add_f16_sdwa v86, v19, v18 dst_sel:DWORD dst_unused:UNUSED_PAD src0_sel:DWORD src1_sel:WORD_1
	v_add_f16_e32 v19, v72, v18
	v_mul_f16_sdwa v72, v64, v6 dst_sel:DWORD dst_unused:UNUSED_PAD src0_sel:DWORD src1_sel:WORD_1
	v_add_f16_sdwa v75, v52, v18 dst_sel:DWORD dst_unused:UNUSED_PAD src0_sel:DWORD src1_sel:WORD_1
	v_add_f16_sdwa v52, v58, v18 dst_sel:DWORD dst_unused:UNUSED_PAD src0_sel:DWORD src1_sel:WORD_1
	v_add_f16_e32 v58, v54, v18
	v_add_f16_sdwa v54, v78, v18 dst_sel:DWORD dst_unused:UNUSED_PAD src0_sel:DWORD src1_sel:WORD_1
	v_fma_f16 v78, v65, v6, -v72
	v_mul_f16_sdwa v65, v65, v6 dst_sel:DWORD dst_unused:UNUSED_PAD src0_sel:DWORD src1_sel:WORD_1
	v_add_f16_sdwa v74, v57, v18 dst_sel:DWORD dst_unused:UNUSED_PAD src0_sel:DWORD src1_sel:WORD_1
	v_add_f16_e32 v57, v48, v18
	v_add_f16_sdwa v48, v79, v18 dst_sel:DWORD dst_unused:UNUSED_PAD src0_sel:DWORD src1_sel:WORD_1
	v_fma_f16 v79, v64, v6, v65
	s_waitcnt lgkmcnt(0)
	v_lshrrev_b32_e32 v64, 16, v66
	v_mul_f16_sdwa v65, v66, v7 dst_sel:DWORD dst_unused:UNUSED_PAD src0_sel:DWORD src1_sel:WORD_1
	v_add_f16_e32 v55, v44, v18
	v_add_f16_sdwa v44, v81, v18 dst_sel:DWORD dst_unused:UNUSED_PAD src0_sel:DWORD src1_sel:WORD_1
	v_fma_f16 v81, v64, v7, v65
	v_mul_f16_sdwa v64, v64, v7 dst_sel:DWORD dst_unused:UNUSED_PAD src0_sel:DWORD src1_sel:WORD_1
	v_add_f16_e32 v56, v46, v18
	v_add_f16_sdwa v46, v80, v18 dst_sel:DWORD dst_unused:UNUSED_PAD src0_sel:DWORD src1_sel:WORD_1
	v_fma_f16 v80, v66, v7, -v64
	ds_read2_b32 v[64:65], v21 offset0:102 offset1:119
	v_lshrrev_b32_e32 v66, 16, v67
	s_waitcnt vmcnt(1)
	v_mul_f16_sdwa v72, v66, v8 dst_sel:DWORD dst_unused:UNUSED_PAD src0_sel:DWORD src1_sel:WORD_1
	v_fma_f16 v90, v67, v8, -v72
	v_mul_f16_sdwa v67, v67, v8 dst_sel:DWORD dst_unused:UNUSED_PAD src0_sel:DWORD src1_sel:WORD_1
	v_fma_f16 v91, v66, v8, v67
	s_waitcnt lgkmcnt(0)
	v_lshrrev_b32_e32 v66, 16, v64
	v_mul_f16_sdwa v67, v64, v9 dst_sel:DWORD dst_unused:UNUSED_PAD src0_sel:DWORD src1_sel:WORD_1
	v_fma_f16 v93, v66, v9, v67
	v_mul_f16_sdwa v66, v66, v9 dst_sel:DWORD dst_unused:UNUSED_PAD src0_sel:DWORD src1_sel:WORD_1
	v_fma_f16 v92, v64, v9, -v66
	ds_read2_b32 v[66:67], v21 offset0:136 offset1:153
	v_lshrrev_b32_e32 v64, 16, v65
	v_mul_f16_sdwa v72, v64, v10 dst_sel:DWORD dst_unused:UNUSED_PAD src0_sel:DWORD src1_sel:WORD_1
	v_fma_f16 v97, v65, v10, -v72
	v_mul_f16_sdwa v65, v65, v10 dst_sel:DWORD dst_unused:UNUSED_PAD src0_sel:DWORD src1_sel:WORD_1
	v_fma_f16 v99, v64, v10, v65
	s_waitcnt lgkmcnt(0)
	v_lshrrev_b32_e32 v64, 16, v66
	v_mul_f16_sdwa v65, v66, v11 dst_sel:DWORD dst_unused:UNUSED_PAD src0_sel:DWORD src1_sel:WORD_1
	v_fma_f16 v105, v64, v11, v65
	v_mul_f16_sdwa v64, v64, v11 dst_sel:DWORD dst_unused:UNUSED_PAD src0_sel:DWORD src1_sel:WORD_1
	v_fma_f16 v103, v66, v11, -v64
	ds_read2_b32 v[64:65], v21 offset0:170 offset1:187
	v_lshrrev_b32_e32 v66, 16, v67
	s_waitcnt vmcnt(0)
	v_mul_f16_sdwa v72, v66, v12 dst_sel:DWORD dst_unused:UNUSED_PAD src0_sel:DWORD src1_sel:WORD_1
	v_fma_f16 v104, v67, v12, -v72
	v_mul_f16_sdwa v67, v67, v12 dst_sel:DWORD dst_unused:UNUSED_PAD src0_sel:DWORD src1_sel:WORD_1
	v_fma_f16 v109, v66, v12, v67
	s_waitcnt lgkmcnt(0)
	v_lshrrev_b32_e32 v66, 16, v64
	v_mul_f16_sdwa v67, v64, v13 dst_sel:DWORD dst_unused:UNUSED_PAD src0_sel:DWORD src1_sel:WORD_1
	v_fma_f16 v102, v66, v13, v67
	v_mul_f16_sdwa v66, v66, v13 dst_sel:DWORD dst_unused:UNUSED_PAD src0_sel:DWORD src1_sel:WORD_1
	v_fma_f16 v98, v64, v13, -v66
	ds_read2_b32 v[66:67], v21 offset0:204 offset1:221
	v_lshrrev_b32_e32 v64, 16, v65
	v_mul_f16_sdwa v72, v64, v14 dst_sel:DWORD dst_unused:UNUSED_PAD src0_sel:DWORD src1_sel:WORD_1
	v_fma_f16 v96, v65, v14, -v72
	v_mul_f16_sdwa v65, v65, v14 dst_sel:DWORD dst_unused:UNUSED_PAD src0_sel:DWORD src1_sel:WORD_1
	v_fma_f16 v100, v64, v14, v65
	s_waitcnt lgkmcnt(0)
	v_lshrrev_b32_e32 v64, 16, v66
	v_mul_f16_sdwa v65, v66, v15 dst_sel:DWORD dst_unused:UNUSED_PAD src0_sel:DWORD src1_sel:WORD_1
	v_fma_f16 v94, v64, v15, v65
	v_mul_f16_sdwa v64, v64, v15 dst_sel:DWORD dst_unused:UNUSED_PAD src0_sel:DWORD src1_sel:WORD_1
	v_fma_f16 v95, v66, v15, -v64
	ds_read2_b32 v[64:65], v21 offset0:238 offset1:255
	v_lshrrev_b32_e32 v66, 16, v67
	v_mul_f16_sdwa v72, v66, v0 dst_sel:DWORD dst_unused:UNUSED_PAD src0_sel:DWORD src1_sel:WORD_1
	v_add_f16_e32 v85, v42, v18
	v_add_f16_sdwa v51, v51, v18 dst_sel:DWORD dst_unused:UNUSED_PAD src0_sel:DWORD src1_sel:WORD_1
	v_add_f16_sdwa v61, v60, v18 dst_sel:DWORD dst_unused:UNUSED_PAD src0_sel:DWORD src1_sel:WORD_1
	;; [unrolled: 1-line block ×6, first 2 shown]
	v_fma_f16 v84, v67, v0, -v72
	v_mul_f16_sdwa v67, v67, v0 dst_sel:DWORD dst_unused:UNUSED_PAD src0_sel:DWORD src1_sel:WORD_1
	v_fma_f16 v89, v66, v0, v67
	s_waitcnt lgkmcnt(0)
	v_lshrrev_b32_e32 v66, 16, v64
	v_mul_f16_sdwa v67, v64, v1 dst_sel:DWORD dst_unused:UNUSED_PAD src0_sel:DWORD src1_sel:WORD_1
	v_fma_f16 v82, v66, v1, v67
	v_mul_f16_sdwa v66, v66, v1 dst_sel:DWORD dst_unused:UNUSED_PAD src0_sel:DWORD src1_sel:WORD_1
	v_fma_f16 v83, v64, v1, -v66
	v_lshrrev_b32_e32 v64, 16, v65
	v_mul_f16_sdwa v66, v64, v2 dst_sel:DWORD dst_unused:UNUSED_PAD src0_sel:DWORD src1_sel:WORD_1
	v_fma_f16 v66, v65, v2, -v66
	v_mul_f16_sdwa v65, v65, v2 dst_sel:DWORD dst_unused:UNUSED_PAD src0_sel:DWORD src1_sel:WORD_1
	v_fma_f16 v67, v64, v2, v65
	v_add_f16_e32 v64, v85, v71
	v_add_f16_e32 v65, v86, v70
	;; [unrolled: 1-line block ×29, first 2 shown]
	v_add_f16_sdwa v65, v65, v69 dst_sel:WORD_1 dst_unused:UNUSED_PAD src0_sel:DWORD src1_sel:DWORD
	v_or_b32_e32 v106, v65, v64
	v_add_f16_e32 v65, v70, v67
	v_sub_f16_e32 v67, v70, v67
	v_add_f16_e32 v64, v71, v66
	v_sub_f16_e32 v66, v71, v66
	v_mul_f16_e32 v72, 0xb964, v67
	v_fma_f16 v68, v64, s15, -v72
	v_mul_f16_e32 v73, 0xb964, v66
	v_add_f16_e32 v85, v68, v87
	v_fma_f16 v68, v65, s15, v73
	v_sub_f16_e32 v71, v79, v82
	v_add_f16_e32 v86, v68, v88
	v_add_f16_e32 v68, v78, v83
	v_sub_f16_e32 v70, v78, v83
	v_add_f16_e32 v69, v79, v82
	v_mul_f16_e32 v82, 0xbb29, v71
	v_fma_f16 v78, v68, s13, -v82
	v_mul_f16_e32 v83, 0xbb29, v70
	v_add_f16_e32 v85, v78, v85
	v_fma_f16 v78, v69, s13, v83
	v_add_f16_e32 v79, v81, v89
	v_sub_f16_e32 v81, v81, v89
	v_add_f16_e32 v86, v78, v86
	v_add_f16_e32 v78, v80, v84
	v_sub_f16_e32 v80, v80, v84
	v_mul_f16_e32 v88, 0xbbf7, v81
	v_fma_f16 v84, v78, s12, -v88
	v_mul_f16_e32 v89, 0xbbf7, v80
	v_add_f16_e32 v101, v84, v85
	v_fma_f16 v84, v79, s12, v89
	v_sub_f16_e32 v87, v91, v94
	v_add_f16_e32 v107, v84, v86
	v_add_f16_e32 v84, v90, v95
	v_sub_f16_e32 v86, v90, v95
	v_add_f16_e32 v85, v91, v94
	v_mul_f16_e32 v94, 0xbbb2, v87
	v_fma_f16 v90, v84, s14, -v94
	v_mul_f16_e32 v95, 0xbbb2, v86
	v_add_f16_e32 v101, v90, v101
	v_fma_f16 v90, v85, s14, v95
	v_add_f16_e32 v91, v93, v100
	v_sub_f16_e32 v93, v93, v100
	v_add_f16_e32 v107, v90, v107
	v_add_f16_e32 v90, v92, v96
	v_mul_f16_e32 v100, 0xba62, v93
	v_sub_f16_e32 v92, v92, v96
	v_fma_f16 v96, v90, s17, -v100
	v_add_f16_e32 v108, v96, v101
	v_mul_f16_e32 v101, 0xba62, v92
	v_fma_f16 v96, v91, s17, v101
	v_add_f16_e32 v110, v96, v107
	v_add_f16_e32 v96, v97, v98
	v_sub_f16_e32 v98, v97, v98
	v_add_f16_e32 v97, v99, v102
	v_sub_f16_e32 v99, v99, v102
	v_mul_f16_e32 v107, 0xb836, v99
	v_fma_f16 v102, v96, s18, -v107
	v_add_f16_e32 v111, v102, v108
	v_mul_f16_e32 v108, 0xb836, v98
	v_fma_f16 v102, v97, s18, v108
	v_add_f16_e32 v112, v102, v110
	v_add_f16_e32 v102, v103, v104
	v_sub_f16_e32 v104, v103, v104
	v_add_f16_e32 v103, v105, v109
	v_sub_f16_e32 v105, v105, v109
	v_mul_f16_e32 v109, 0xb1e1, v105
	v_fma_f16 v110, v102, s19, -v109
	v_add_f16_e32 v111, v110, v111
	v_mul_f16_e32 v110, 0xb1e1, v104
	v_fma_f16 v113, v103, s19, v110
	v_add_f16_e32 v112, v113, v112
	v_pack_b32_f16 v111, v111, v112
	ds_write2_b32 v21, v106, v111 offset1:17
	v_mul_f16_e32 v106, 0xbbf7, v67
	v_fma_f16 v111, v64, s12, -v106
	v_add_f16_e32 v77, v111, v77
	v_mul_f16_e32 v111, 0xbbf7, v66
	v_fma_f16 v112, v65, s12, v111
	v_add_f16_e32 v75, v112, v75
	v_mul_f16_e32 v112, 0xba62, v67
	v_fma_f16 v113, v64, s17, -v112
	v_add_f16_e32 v76, v113, v76
	v_mul_f16_e32 v113, 0xba62, v66
	v_fma_f16 v114, v65, s17, v113
	v_add_f16_e32 v74, v114, v74
	;; [unrolled: 6-line block ×14, first 2 shown]
	v_pack_b32_f16 v75, v77, v75
	v_pack_b32_f16 v74, v76, v74
	ds_write2_b32 v21, v75, v74 offset0:34 offset1:51
	v_mul_f16_e32 v74, 0xb1e1, v67
	v_fma_f16 v75, v64, s19, -v74
	v_add_f16_e32 v63, v75, v63
	v_mul_f16_e32 v75, 0xb1e1, v66
	v_fma_f16 v76, v65, s19, v75
	v_add_f16_e32 v61, v76, v61
	v_mul_f16_e32 v76, 0x3836, v67
	v_fma_f16 v77, v64, s18, -v76
	v_add_f16_e32 v62, v77, v62
	v_mul_f16_e32 v77, 0x3836, v66
	v_fma_f16 v138, v65, s18, v77
	v_add_f16_e32 v60, v138, v60
	;; [unrolled: 6-line block ×14, first 2 shown]
	v_pack_b32_f16 v61, v63, v61
	v_pack_b32_f16 v60, v62, v60
	ds_write2_b32 v21, v61, v60 offset0:68 offset1:85
	v_fma_f16 v60, v64, s15, v72
	v_add_f16_e32 v55, v60, v55
	v_fma_f16 v60, v65, s15, -v73
	v_add_f16_e32 v50, v60, v50
	v_fma_f16 v60, v64, s12, v106
	v_add_f16_e32 v56, v60, v56
	v_fma_f16 v60, v65, s12, -v111
	v_add_f16_e32 v51, v60, v51
	;; [unrolled: 4-line block ×5, first 2 shown]
	v_mul_f16_e32 v60, 0x3bb2, v67
	v_fma_f16 v61, v64, s14, -v60
	v_add_f16_e32 v49, v61, v49
	v_mul_f16_e32 v61, 0x3bb2, v66
	v_fma_f16 v60, v64, s14, v60
	v_add_f16_e32 v47, v60, v47
	v_fma_f16 v60, v65, s14, -v61
	v_add_f16_e32 v46, v60, v46
	v_mul_f16_e32 v60, 0x3b29, v67
	v_fma_f16 v62, v65, s14, v61
	v_fma_f16 v61, v64, s13, -v60
	v_add_f16_e32 v45, v61, v45
	v_mul_f16_e32 v61, 0x3b29, v66
	v_fma_f16 v60, v64, s13, v60
	v_add_f16_e32 v43, v60, v43
	v_fma_f16 v60, v65, s13, -v61
	v_add_f16_e32 v42, v60, v42
	v_mul_f16_e32 v60, 0x35c8, v67
	v_add_f16_e32 v48, v62, v48
	v_fma_f16 v62, v65, s13, v61
	v_fma_f16 v61, v64, s16, -v60
	v_add_f16_e32 v41, v61, v41
	v_mul_f16_e32 v61, 0x35c8, v66
	v_fma_f16 v60, v64, s16, v60
	v_add_f16_e32 v19, v60, v19
	v_fma_f16 v60, v65, s16, -v61
	v_add_f16_e32 v18, v60, v18
	v_fma_f16 v60, v68, s13, v82
	v_add_f16_e32 v55, v60, v55
	v_fma_f16 v60, v69, s13, -v83
	v_add_f16_e32 v50, v60, v50
	v_fma_f16 v60, v68, s17, v114
	v_add_f16_e32 v56, v60, v56
	v_fma_f16 v60, v69, s17, -v115
	v_add_f16_e32 v51, v60, v51
	v_fma_f16 v60, v68, s19, v116
	v_add_f16_e32 v57, v60, v57
	v_fma_f16 v60, v69, s19, -v117
	v_add_f16_e32 v52, v60, v52
	v_fma_f16 v60, v68, s14, v138
	v_add_f16_e32 v58, v60, v58
	v_fma_f16 v60, v69, s14, -v139
	v_add_f16_e32 v53, v60, v53
	v_fma_f16 v60, v68, s15, v140
	v_add_f16_e32 v59, v60, v59
	v_fma_f16 v60, v69, s15, -v141
	v_add_f16_e32 v54, v60, v54
	v_mul_f16_e32 v60, 0xb5c8, v71
	v_add_f16_e32 v44, v62, v44
	v_fma_f16 v62, v65, s16, v61
	v_fma_f16 v61, v68, s16, -v60
	v_add_f16_e32 v49, v61, v49
	v_mul_f16_e32 v61, 0xb5c8, v70
	v_fma_f16 v60, v68, s16, v60
	v_add_f16_e32 v47, v60, v47
	v_fma_f16 v60, v69, s16, -v61
	v_add_f16_e32 v46, v60, v46
	v_mul_f16_e32 v60, 0xbbf7, v71
	v_add_f16_e32 v20, v62, v20
	v_fma_f16 v62, v69, s16, v61
	v_fma_f16 v61, v68, s12, -v60
	v_add_f16_e32 v45, v61, v45
	v_mul_f16_e32 v61, 0xbbf7, v70
	v_fma_f16 v60, v68, s12, v60
	v_add_f16_e32 v43, v60, v43
	v_fma_f16 v60, v69, s12, -v61
	v_add_f16_e32 v42, v60, v42
	v_mul_f16_e32 v60, 0xb836, v71
	v_add_f16_e32 v48, v62, v48
	v_fma_f16 v62, v69, s12, v61
	v_fma_f16 v61, v68, s18, -v60
	v_add_f16_e32 v41, v61, v41
	v_mul_f16_e32 v61, 0xb836, v70
	v_fma_f16 v60, v68, s18, v60
	v_add_f16_e32 v19, v60, v19
	v_fma_f16 v60, v69, s18, -v61
	v_add_f16_e32 v18, v60, v18
	v_fma_f16 v60, v78, s12, v88
	v_add_f16_e32 v55, v60, v55
	v_fma_f16 v60, v79, s12, -v89
	v_add_f16_e32 v50, v60, v50
	v_fma_f16 v60, v78, s19, v118
	v_add_f16_e32 v56, v60, v56
	v_fma_f16 v60, v79, s19, -v119
	v_add_f16_e32 v51, v60, v51
	v_fma_f16 v60, v78, s14, v120
	v_add_f16_e32 v57, v60, v57
	v_fma_f16 v60, v79, s14, -v121
	v_add_f16_e32 v52, v60, v52
	v_fma_f16 v60, v78, s16, v142
	v_add_f16_e32 v58, v60, v58
	v_fma_f16 v60, v79, s16, -v143
	v_add_f16_e32 v53, v60, v53
	v_fma_f16 v60, v78, s13, v144
	v_add_f16_e32 v59, v60, v59
	v_fma_f16 v60, v79, s13, -v145
	v_add_f16_e32 v54, v60, v54
	v_mul_f16_e32 v60, 0xb836, v81
	v_add_f16_e32 v44, v62, v44
	v_fma_f16 v62, v69, s18, v61
	v_fma_f16 v61, v78, s18, -v60
	v_add_f16_e32 v49, v61, v49
	v_mul_f16_e32 v61, 0xb836, v80
	v_fma_f16 v60, v78, s18, v60
	v_add_f16_e32 v47, v60, v47
	v_fma_f16 v60, v79, s18, -v61
	v_add_f16_e32 v46, v60, v46
	v_mul_f16_e32 v60, 0x3a62, v81
	v_add_f16_e32 v20, v62, v20
	v_fma_f16 v62, v79, s18, v61
	v_fma_f16 v61, v78, s17, -v60
	v_add_f16_e32 v45, v61, v45
	v_mul_f16_e32 v61, 0x3a62, v80
	v_fma_f16 v60, v78, s17, v60
	v_add_f16_e32 v43, v60, v43
	v_fma_f16 v60, v79, s17, -v61
	v_add_f16_e32 v42, v60, v42
	v_mul_f16_e32 v60, 0x3964, v81
	v_add_f16_e32 v48, v62, v48
	v_fma_f16 v62, v79, s17, v61
	v_fma_f16 v61, v78, s15, -v60
	v_add_f16_e32 v41, v61, v41
	v_mul_f16_e32 v61, 0x3964, v80
	v_fma_f16 v60, v78, s15, v60
	v_add_f16_e32 v19, v60, v19
	v_fma_f16 v60, v79, s15, -v61
	v_add_f16_e32 v18, v60, v18
	v_fma_f16 v60, v84, s14, v94
	v_add_f16_e32 v55, v60, v55
	v_fma_f16 v60, v85, s14, -v95
	v_add_f16_e32 v50, v60, v50
	v_fma_f16 v60, v84, s18, v122
	v_add_f16_e32 v56, v60, v56
	v_fma_f16 v60, v85, s18, -v123
	v_add_f16_e32 v51, v60, v51
	v_fma_f16 v60, v84, s15, v124
	v_add_f16_e32 v57, v60, v57
	v_fma_f16 v60, v85, s15, -v125
	v_add_f16_e32 v52, v60, v52
	v_fma_f16 v60, v84, s13, v146
	v_add_f16_e32 v58, v60, v58
	v_fma_f16 v60, v85, s13, -v147
	v_add_f16_e32 v53, v60, v53
	v_fma_f16 v60, v84, s19, v148
	v_add_f16_e32 v59, v60, v59
	v_fma_f16 v60, v85, s19, -v149
	v_add_f16_e32 v54, v60, v54
	v_mul_f16_e32 v60, 0x3bf7, v87
	v_add_f16_e32 v44, v62, v44
	v_fma_f16 v62, v79, s15, v61
	v_fma_f16 v61, v84, s12, -v60
	v_add_f16_e32 v49, v61, v49
	v_mul_f16_e32 v61, 0x3bf7, v86
	v_fma_f16 v60, v84, s12, v60
	v_add_f16_e32 v47, v60, v47
	v_fma_f16 v60, v85, s12, -v61
	v_add_f16_e32 v46, v60, v46
	v_mul_f16_e32 v60, 0xb5c8, v87
	v_add_f16_e32 v20, v62, v20
	v_fma_f16 v62, v85, s12, v61
	v_fma_f16 v61, v84, s16, -v60
	v_add_f16_e32 v45, v61, v45
	v_mul_f16_e32 v61, 0xb5c8, v86
	v_fma_f16 v60, v84, s16, v60
	v_add_f16_e32 v43, v60, v43
	v_fma_f16 v60, v85, s16, -v61
	v_add_f16_e32 v42, v60, v42
	v_mul_f16_e32 v60, 0xba62, v87
	v_add_f16_e32 v48, v62, v48
	v_fma_f16 v62, v85, s16, v61
	v_fma_f16 v61, v84, s17, -v60
	v_add_f16_e32 v41, v61, v41
	v_mul_f16_e32 v61, 0xba62, v86
	v_fma_f16 v60, v84, s17, v60
	v_add_f16_e32 v19, v60, v19
	v_fma_f16 v60, v85, s17, -v61
	v_add_f16_e32 v18, v60, v18
	v_fma_f16 v60, v90, s17, v100
	v_add_f16_e32 v55, v60, v55
	v_fma_f16 v60, v91, s17, -v101
	v_add_f16_e32 v50, v60, v50
	v_fma_f16 v60, v90, s14, v126
	v_add_f16_e32 v56, v60, v56
	v_fma_f16 v60, v91, s14, -v127
	v_add_f16_e32 v51, v60, v51
	v_fma_f16 v60, v90, s16, v128
	v_add_f16_e32 v57, v60, v57
	v_fma_f16 v60, v91, s16, -v129
	v_add_f16_e32 v52, v60, v52
	v_fma_f16 v60, v90, s18, v150
	v_add_f16_e32 v58, v60, v58
	v_fma_f16 v60, v91, s18, -v151
	v_add_f16_e32 v53, v60, v53
	v_fma_f16 v60, v90, s12, v152
	v_add_f16_e32 v59, v60, v59
	v_fma_f16 v60, v91, s12, -v153
	v_add_f16_e32 v54, v60, v54
	v_mul_f16_e32 v60, 0xb964, v93
	v_add_f16_e32 v44, v62, v44
	v_fma_f16 v62, v85, s17, v61
	v_fma_f16 v61, v90, s15, -v60
	v_add_f16_e32 v49, v61, v49
	v_mul_f16_e32 v61, 0xb964, v92
	v_fma_f16 v60, v90, s15, v60
	v_add_f16_e32 v47, v60, v47
	v_fma_f16 v60, v91, s15, -v61
	v_add_f16_e32 v46, v60, v46
	v_mul_f16_e32 v60, 0xb1e1, v93
	v_add_f16_e32 v20, v62, v20
	v_fma_f16 v62, v91, s15, v61
	v_fma_f16 v61, v90, s19, -v60
	v_add_f16_e32 v45, v61, v45
	v_mul_f16_e32 v61, 0xb1e1, v92
	v_fma_f16 v60, v90, s19, v60
	v_add_f16_e32 v43, v60, v43
	v_fma_f16 v60, v91, s19, -v61
	v_add_f16_e32 v42, v60, v42
	v_mul_f16_e32 v60, 0x3b29, v93
	v_add_f16_e32 v48, v62, v48
	v_fma_f16 v62, v91, s19, v61
	v_fma_f16 v61, v90, s13, -v60
	v_add_f16_e32 v41, v61, v41
	v_mul_f16_e32 v61, 0x3b29, v92
	v_fma_f16 v60, v90, s13, v60
	v_add_f16_e32 v19, v60, v19
	v_fma_f16 v60, v91, s13, -v61
	v_add_f16_e32 v18, v60, v18
	v_fma_f16 v60, v96, s18, v107
	v_add_f16_e32 v55, v60, v55
	v_fma_f16 v60, v97, s18, -v108
	v_add_f16_e32 v50, v60, v50
	v_fma_f16 v60, v96, s13, v130
	v_add_f16_e32 v56, v60, v56
	v_fma_f16 v60, v97, s13, -v131
	v_add_f16_e32 v51, v60, v51
	v_fma_f16 v60, v96, s12, v132
	v_add_f16_e32 v57, v60, v57
	v_fma_f16 v60, v97, s12, -v133
	v_add_f16_e32 v52, v60, v52
	v_fma_f16 v60, v96, s17, v154
	v_add_f16_e32 v58, v60, v58
	v_fma_f16 v60, v97, s17, -v155
	v_add_f16_e32 v53, v60, v53
	v_fma_f16 v60, v96, s16, v156
	v_add_f16_e32 v59, v60, v59
	v_fma_f16 v60, v97, s16, -v157
	v_add_f16_e32 v54, v60, v54
	v_mul_f16_e32 v60, 0xb1e1, v99
	v_add_f16_e32 v44, v62, v44
	v_fma_f16 v62, v91, s13, v61
	v_fma_f16 v61, v96, s19, -v60
	v_add_f16_e32 v49, v61, v49
	v_mul_f16_e32 v61, 0xb1e1, v98
	v_fma_f16 v60, v96, s19, v60
	v_add_f16_e32 v47, v60, v47
	v_fma_f16 v60, v97, s19, -v61
	v_add_f16_e32 v46, v60, v46
	v_mul_f16_e32 v60, 0x3964, v99
	v_add_f16_e32 v20, v62, v20
	v_fma_f16 v62, v97, s19, v61
	v_fma_f16 v61, v96, s15, -v60
	v_add_f16_e32 v45, v61, v45
	v_mul_f16_e32 v61, 0x3964, v98
	v_fma_f16 v60, v96, s15, v60
	v_add_f16_e32 v43, v60, v43
	v_fma_f16 v60, v97, s15, -v61
	v_add_f16_e32 v42, v60, v42
	v_mul_f16_e32 v60, 0xbbb2, v99
	v_add_f16_e32 v48, v62, v48
	v_fma_f16 v62, v97, s15, v61
	v_fma_f16 v61, v96, s14, -v60
	v_add_f16_e32 v41, v61, v41
	v_mul_f16_e32 v61, 0xbbb2, v98
	v_fma_f16 v60, v96, s14, v60
	v_add_f16_e32 v19, v60, v19
	v_fma_f16 v60, v97, s14, -v61
	v_add_f16_e32 v18, v60, v18
	v_fma_f16 v60, v102, s19, v109
	v_add_f16_e32 v55, v60, v55
	v_fma_f16 v60, v103, s19, -v110
	v_add_f16_e32 v50, v60, v50
	v_fma_f16 v60, v102, s16, v134
	v_add_f16_e32 v56, v60, v56
	v_fma_f16 v60, v103, s16, -v135
	v_add_f16_e32 v51, v60, v51
	v_fma_f16 v60, v102, s18, v136
	v_add_f16_e32 v57, v60, v57
	v_fma_f16 v60, v103, s18, -v137
	v_add_f16_e32 v52, v60, v52
	v_fma_f16 v60, v102, s15, v158
	v_add_f16_e32 v58, v60, v58
	v_fma_f16 v60, v103, s15, -v159
	v_add_f16_e32 v53, v60, v53
	v_fma_f16 v60, v102, s17, v160
	v_add_f16_e32 v59, v60, v59
	v_fma_f16 v60, v103, s17, -v161
	v_add_f16_e32 v54, v60, v54
	v_mul_f16_e32 v60, 0x3b29, v105
	v_add_f16_e32 v44, v62, v44
	v_fma_f16 v62, v97, s14, v61
	v_fma_f16 v61, v102, s13, -v60
	v_add_f16_e32 v49, v61, v49
	v_mul_f16_e32 v61, 0x3b29, v104
	v_fma_f16 v60, v102, s13, v60
	v_add_f16_e32 v47, v60, v47
	v_fma_f16 v60, v103, s13, -v61
	v_add_f16_e32 v46, v60, v46
	v_mul_f16_e32 v60, 0xbbb2, v105
	v_add_f16_e32 v20, v62, v20
	v_fma_f16 v62, v103, s13, v61
	v_fma_f16 v61, v102, s14, -v60
	v_add_f16_e32 v45, v61, v45
	v_mul_f16_e32 v61, 0xbbb2, v104
	v_fma_f16 v60, v102, s14, v60
	v_add_f16_e32 v43, v60, v43
	v_fma_f16 v60, v103, s14, -v61
	v_add_f16_e32 v42, v60, v42
	v_mul_f16_e32 v60, 0x3bf7, v105
	v_add_f16_e32 v48, v62, v48
	v_fma_f16 v62, v103, s14, v61
	v_fma_f16 v61, v102, s12, -v60
	v_add_f16_e32 v41, v61, v41
	v_mul_f16_e32 v61, 0x3bf7, v104
	v_fma_f16 v60, v102, s12, v60
	v_add_f16_e32 v44, v62, v44
	v_fma_f16 v62, v103, s12, v61
	v_add_f16_e32 v19, v60, v19
	v_fma_f16 v60, v103, s12, -v61
	v_add_f16_e32 v20, v62, v20
	v_add_f16_e32 v18, v60, v18
	v_pack_b32_f16 v20, v41, v20
	v_pack_b32_f16 v18, v19, v18
	ds_write2_b32 v21, v20, v18 offset0:136 offset1:153
	v_pack_b32_f16 v18, v43, v42
	v_pack_b32_f16 v19, v47, v46
	ds_write2_b32 v21, v18, v19 offset0:170 offset1:187
	;; [unrolled: 3-line block ×3, first 2 shown]
	v_pack_b32_f16 v18, v57, v52
	v_pack_b32_f16 v19, v56, v51
	;; [unrolled: 1-line block ×4, first 2 shown]
	ds_write2_b32 v21, v18, v19 offset0:238 offset1:255
	v_pack_b32_f16 v18, v55, v50
	ds_write2_b32 v21, v48, v44 offset0:102 offset1:119
	ds_write_b32 v21, v18 offset:1088
	s_waitcnt lgkmcnt(0)
	s_barrier
	global_load_dword v20, v17, s[0:1] offset:1156
	global_load_dword v43, v17, s[6:7] offset:68
	;; [unrolled: 1-line block ×13, first 2 shown]
	ds_read2_b32 v[18:19], v21 offset1:17
	s_mov_b32 s2, 0xbb29
	s_mov_b32 s0, 0xbbf7
	;; [unrolled: 1-line block ×3, first 2 shown]
	s_movk_i32 s3, 0x3bb2
	s_waitcnt lgkmcnt(0)
	v_lshrrev_b32_e32 v41, 16, v18
	s_waitcnt vmcnt(12)
	v_mul_f16_sdwa v42, v41, v20 dst_sel:DWORD dst_unused:UNUSED_PAD src0_sel:DWORD src1_sel:WORD_1
	v_fma_f16 v42, v18, v20, -v42
	v_mul_f16_sdwa v18, v18, v20 dst_sel:DWORD dst_unused:UNUSED_PAD src0_sel:DWORD src1_sel:WORD_1
	v_fma_f16 v18, v41, v20, v18
	v_lshrrev_b32_e32 v20, 16, v19
	s_waitcnt vmcnt(11)
	v_mul_f16_sdwa v41, v20, v43 dst_sel:DWORD dst_unused:UNUSED_PAD src0_sel:DWORD src1_sel:WORD_1
	v_pack_b32_f16 v18, v42, v18
	v_fma_f16 v54, v19, v43, -v41
	ds_read2_b32 v[41:42], v21 offset0:34 offset1:51
	v_mul_f16_sdwa v19, v19, v43 dst_sel:DWORD dst_unused:UNUSED_PAD src0_sel:DWORD src1_sel:WORD_1
	v_fma_f16 v19, v20, v43, v19
	global_load_dword v43, v17, s[6:7] offset:884
	v_pack_b32_f16 v19, v54, v19
	ds_write2_b32 v21, v18, v19 offset1:17
	s_waitcnt lgkmcnt(1)
	v_lshrrev_b32_e32 v18, 16, v41
	s_waitcnt vmcnt(11)
	v_mul_f16_sdwa v19, v18, v44 dst_sel:DWORD dst_unused:UNUSED_PAD src0_sel:DWORD src1_sel:WORD_1
	v_mul_f16_sdwa v20, v41, v44 dst_sel:DWORD dst_unused:UNUSED_PAD src0_sel:DWORD src1_sel:WORD_1
	v_fma_f16 v19, v41, v44, -v19
	v_fma_f16 v18, v18, v44, v20
	global_load_dword v44, v17, s[6:7] offset:952
	v_lshrrev_b32_e32 v41, 16, v42
	v_pack_b32_f16 v20, v19, v18
	s_waitcnt vmcnt(11)
	v_mul_f16_sdwa v18, v41, v45 dst_sel:DWORD dst_unused:UNUSED_PAD src0_sel:DWORD src1_sel:WORD_1
	v_fma_f16 v54, v42, v45, -v18
	ds_read2_b32 v[18:19], v21 offset0:68 offset1:85
	v_mul_f16_sdwa v42, v42, v45 dst_sel:DWORD dst_unused:UNUSED_PAD src0_sel:DWORD src1_sel:WORD_1
	v_fma_f16 v41, v41, v45, v42
	global_load_dword v42, v17, s[6:7] offset:1020
	v_pack_b32_f16 v41, v54, v41
	ds_write2_b32 v21, v20, v41 offset0:34 offset1:51
	s_waitcnt lgkmcnt(1)
	v_lshrrev_b32_e32 v20, 16, v18
	s_waitcnt vmcnt(11)
	v_mul_f16_sdwa v41, v20, v46 dst_sel:DWORD dst_unused:UNUSED_PAD src0_sel:DWORD src1_sel:WORD_1
	v_fma_f16 v41, v18, v46, -v41
	v_mul_f16_sdwa v18, v18, v46 dst_sel:DWORD dst_unused:UNUSED_PAD src0_sel:DWORD src1_sel:WORD_1
	v_fma_f16 v18, v20, v46, v18
	v_pack_b32_f16 v20, v41, v18
	global_load_dword v41, v17, s[6:7] offset:1088
	v_lshrrev_b32_e32 v45, 16, v19
	s_waitcnt vmcnt(11)
	v_mul_f16_sdwa v17, v45, v47 dst_sel:DWORD dst_unused:UNUSED_PAD src0_sel:DWORD src1_sel:WORD_1
	v_fma_f16 v46, v19, v47, -v17
	ds_read2_b32 v[17:18], v21 offset0:102 offset1:119
	v_mul_f16_sdwa v19, v19, v47 dst_sel:DWORD dst_unused:UNUSED_PAD src0_sel:DWORD src1_sel:WORD_1
	v_fma_f16 v19, v45, v47, v19
	v_pack_b32_f16 v19, v46, v19
	ds_write2_b32 v21, v20, v19 offset0:68 offset1:85
	s_waitcnt lgkmcnt(1)
	v_lshrrev_b32_e32 v19, 16, v17
	s_waitcnt vmcnt(10)
	v_mul_f16_sdwa v20, v19, v48 dst_sel:DWORD dst_unused:UNUSED_PAD src0_sel:DWORD src1_sel:WORD_1
	v_fma_f16 v20, v17, v48, -v20
	v_mul_f16_sdwa v17, v17, v48 dst_sel:DWORD dst_unused:UNUSED_PAD src0_sel:DWORD src1_sel:WORD_1
	v_lshrrev_b32_e32 v45, 16, v18
	v_fma_f16 v17, v19, v48, v17
	s_waitcnt vmcnt(9)
	v_mul_f16_sdwa v19, v45, v49 dst_sel:DWORD dst_unused:UNUSED_PAD src0_sel:DWORD src1_sel:WORD_1
	v_pack_b32_f16 v17, v20, v17
	v_fma_f16 v46, v18, v49, -v19
	ds_read2_b32 v[19:20], v21 offset0:136 offset1:153
	v_mul_f16_sdwa v18, v18, v49 dst_sel:DWORD dst_unused:UNUSED_PAD src0_sel:DWORD src1_sel:WORD_1
	v_fma_f16 v18, v45, v49, v18
	v_pack_b32_f16 v18, v46, v18
	ds_write2_b32 v21, v17, v18 offset0:102 offset1:119
	s_waitcnt lgkmcnt(1)
	v_lshrrev_b32_e32 v17, 16, v19
	s_waitcnt vmcnt(8)
	v_mul_f16_sdwa v18, v17, v50 dst_sel:DWORD dst_unused:UNUSED_PAD src0_sel:DWORD src1_sel:WORD_1
	v_fma_f16 v18, v19, v50, -v18
	v_mul_f16_sdwa v19, v19, v50 dst_sel:DWORD dst_unused:UNUSED_PAD src0_sel:DWORD src1_sel:WORD_1
	v_fma_f16 v17, v17, v50, v19
	v_lshrrev_b32_e32 v45, 16, v20
	v_pack_b32_f16 v19, v18, v17
	s_waitcnt vmcnt(7)
	v_mul_f16_sdwa v17, v45, v51 dst_sel:DWORD dst_unused:UNUSED_PAD src0_sel:DWORD src1_sel:WORD_1
	v_fma_f16 v46, v20, v51, -v17
	ds_read2_b32 v[17:18], v21 offset0:170 offset1:187
	v_mul_f16_sdwa v20, v20, v51 dst_sel:DWORD dst_unused:UNUSED_PAD src0_sel:DWORD src1_sel:WORD_1
	v_fma_f16 v20, v45, v51, v20
	v_pack_b32_f16 v20, v46, v20
	ds_write2_b32 v21, v19, v20 offset0:136 offset1:153
	s_waitcnt lgkmcnt(1)
	v_lshrrev_b32_e32 v19, 16, v17
	s_waitcnt vmcnt(6)
	v_mul_f16_sdwa v20, v19, v52 dst_sel:DWORD dst_unused:UNUSED_PAD src0_sel:DWORD src1_sel:WORD_1
	v_fma_f16 v20, v17, v52, -v20
	v_mul_f16_sdwa v17, v17, v52 dst_sel:DWORD dst_unused:UNUSED_PAD src0_sel:DWORD src1_sel:WORD_1
	v_lshrrev_b32_e32 v45, 16, v18
	v_fma_f16 v17, v19, v52, v17
	s_waitcnt vmcnt(5)
	v_mul_f16_sdwa v19, v45, v53 dst_sel:DWORD dst_unused:UNUSED_PAD src0_sel:DWORD src1_sel:WORD_1
	v_pack_b32_f16 v17, v20, v17
	v_fma_f16 v46, v18, v53, -v19
	ds_read2_b32 v[19:20], v21 offset0:204 offset1:221
	v_mul_f16_sdwa v18, v18, v53 dst_sel:DWORD dst_unused:UNUSED_PAD src0_sel:DWORD src1_sel:WORD_1
	v_fma_f16 v18, v45, v53, v18
	v_pack_b32_f16 v18, v46, v18
	ds_write2_b32 v21, v17, v18 offset0:170 offset1:187
	s_waitcnt lgkmcnt(1)
	v_lshrrev_b32_e32 v17, 16, v19
	s_waitcnt vmcnt(4)
	v_mul_f16_sdwa v18, v17, v55 dst_sel:DWORD dst_unused:UNUSED_PAD src0_sel:DWORD src1_sel:WORD_1
	v_fma_f16 v18, v19, v55, -v18
	v_mul_f16_sdwa v19, v19, v55 dst_sel:DWORD dst_unused:UNUSED_PAD src0_sel:DWORD src1_sel:WORD_1
	v_fma_f16 v17, v17, v55, v19
	v_lshrrev_b32_e32 v45, 16, v20
	v_pack_b32_f16 v19, v18, v17
	s_waitcnt vmcnt(3)
	v_mul_f16_sdwa v17, v45, v43 dst_sel:DWORD dst_unused:UNUSED_PAD src0_sel:DWORD src1_sel:WORD_1
	v_fma_f16 v46, v20, v43, -v17
	ds_read2_b32 v[17:18], v21 offset0:238 offset1:255
	v_mul_f16_sdwa v20, v20, v43 dst_sel:DWORD dst_unused:UNUSED_PAD src0_sel:DWORD src1_sel:WORD_1
	v_fma_f16 v20, v45, v43, v20
	v_pack_b32_f16 v20, v46, v20
	ds_write2_b32 v21, v19, v20 offset0:204 offset1:221
	s_waitcnt lgkmcnt(1)
	v_lshrrev_b32_e32 v19, 16, v17
	s_waitcnt vmcnt(2)
	v_mul_f16_sdwa v20, v19, v44 dst_sel:DWORD dst_unused:UNUSED_PAD src0_sel:DWORD src1_sel:WORD_1
	v_fma_f16 v20, v17, v44, -v20
	v_mul_f16_sdwa v17, v17, v44 dst_sel:DWORD dst_unused:UNUSED_PAD src0_sel:DWORD src1_sel:WORD_1
	v_fma_f16 v17, v19, v44, v17
	v_lshrrev_b32_e32 v19, 16, v18
	ds_read_b32 v43, v21 offset:1088
	v_pack_b32_f16 v17, v20, v17
	s_waitcnt vmcnt(1)
	v_mul_f16_sdwa v20, v19, v42 dst_sel:DWORD dst_unused:UNUSED_PAD src0_sel:DWORD src1_sel:WORD_1
	v_fma_f16 v20, v18, v42, -v20
	v_mul_f16_sdwa v18, v18, v42 dst_sel:DWORD dst_unused:UNUSED_PAD src0_sel:DWORD src1_sel:WORD_1
	v_fma_f16 v18, v19, v42, v18
	v_pack_b32_f16 v18, v20, v18
	ds_write2_b32 v21, v17, v18 offset0:238 offset1:255
	s_waitcnt lgkmcnt(1)
	v_lshrrev_b32_e32 v17, 16, v43
	s_waitcnt vmcnt(0)
	v_mul_f16_sdwa v18, v17, v41 dst_sel:DWORD dst_unused:UNUSED_PAD src0_sel:DWORD src1_sel:WORD_1
	v_mul_f16_sdwa v19, v43, v41 dst_sel:DWORD dst_unused:UNUSED_PAD src0_sel:DWORD src1_sel:WORD_1
	v_fma_f16 v18, v43, v41, -v18
	v_fma_f16 v17, v17, v41, v19
	v_pack_b32_f16 v17, v18, v17
	ds_write_b32 v21, v17 offset:1088
	s_waitcnt lgkmcnt(0)
	s_barrier
	ds_read2_b32 v[19:20], v21 offset1:17
	ds_read_b32 v41, v21 offset:1088
	ds_read2_b32 v[45:46], v21 offset0:34 offset1:51
	ds_read2_b32 v[49:50], v21 offset0:68 offset1:85
	;; [unrolled: 1-line block ×7, first 2 shown]
	s_waitcnt lgkmcnt(8)
	v_pk_add_f16 v42, v20, v19
	s_waitcnt lgkmcnt(6)
	v_pk_add_f16 v42, v42, v45
	v_pk_add_f16 v42, v42, v46
	s_waitcnt lgkmcnt(5)
	v_pk_add_f16 v42, v42, v49
	;; [unrolled: 3-line block ×6, first 2 shown]
	v_pk_add_f16 v42, v42, v52
	v_pk_add_f16 v57, v41, v20
	s_waitcnt lgkmcnt(0)
	v_pk_add_f16 v42, v42, v47
	v_pk_add_f16 v20, v20, v41 neg_lo:[0,1] neg_hi:[0,1]
	v_mul_f16_sdwa v58, v57, s16 dst_sel:DWORD dst_unused:UNUSED_PAD src0_sel:WORD_1 src1_sel:DWORD
	v_mul_f16_sdwa v62, v57, s15 dst_sel:DWORD dst_unused:UNUSED_PAD src0_sel:WORD_1 src1_sel:DWORD
	;; [unrolled: 1-line block ×7, first 2 shown]
	v_pk_add_f16 v42, v42, v48
	v_pk_add_f16 v43, v48, v45
	v_pk_add_f16 v44, v45, v48 neg_lo:[0,1] neg_hi:[0,1]
	v_pk_add_f16 v45, v47, v46
	v_pk_add_f16 v46, v46, v47 neg_lo:[0,1] neg_hi:[0,1]
	;; [unrolled: 2-line block ×6, first 2 shown]
	v_mul_f16_sdwa v55, v20, s24 dst_sel:DWORD dst_unused:UNUSED_PAD src0_sel:WORD_1 src1_sel:DWORD
	v_fma_f16 v59, v20, s29, v58
	v_fma_f16 v58, v20, s24, v58
	v_mul_f16_sdwa v60, v20, s21 dst_sel:DWORD dst_unused:UNUSED_PAD src0_sel:WORD_1 src1_sel:DWORD
	v_fma_f16 v63, v20, s26, v62
	v_fma_f16 v62, v20, s21, v62
	;; [unrolled: 3-line block ×7, first 2 shown]
	v_pk_mul_f16 v20, v20, s30 op_sel_hi:[1,0]
	v_fma_f16 v61, v57, s15, v60
	v_fma_f16 v65, v57, s13, v64
	;; [unrolled: 1-line block ×6, first 2 shown]
	v_pk_fma_f16 v84, v57, s19, v20 op_sel:[0,0,1] op_sel_hi:[1,0,0]
	v_fma_f16 v56, v57, s16, v55
	v_fma_f16 v55, v57, s16, -v55
	v_fma_f16 v60, v57, s15, -v60
	v_fma_f16 v64, v57, s13, -v64
	v_fma_f16 v68, v57, s12, -v68
	v_fma_f16 v72, v57, s14, -v72
	v_fma_f16 v76, v57, s17, -v76
	v_fma_f16 v80, v57, s18, -v80
	v_pk_fma_f16 v20, v57, s19, v20 op_sel:[0,0,1] op_sel_hi:[1,0,0] neg_lo:[0,0,1] neg_hi:[0,0,1]
	v_add_f16_sdwa v57, v59, v19 dst_sel:DWORD dst_unused:UNUSED_PAD src0_sel:DWORD src1_sel:WORD_1
	v_add_f16_e32 v59, v61, v19
	v_add_f16_sdwa v61, v63, v19 dst_sel:DWORD dst_unused:UNUSED_PAD src0_sel:DWORD src1_sel:WORD_1
	v_add_f16_e32 v63, v65, v19
	;; [unrolled: 2-line block ×6, first 2 shown]
	v_add_f16_sdwa v81, v83, v19 dst_sel:DWORD dst_unused:UNUSED_PAD src0_sel:DWORD src1_sel:WORD_1
	v_pk_add_f16 v83, v84, v19
	v_mul_f16_sdwa v84, v44, s21 dst_sel:DWORD dst_unused:UNUSED_PAD src0_sel:WORD_1 src1_sel:DWORD
	v_add_f16_e32 v56, v56, v19
	v_add_f16_e32 v55, v55, v19
	v_add_f16_sdwa v58, v58, v19 dst_sel:DWORD dst_unused:UNUSED_PAD src0_sel:DWORD src1_sel:WORD_1
	v_add_f16_e32 v60, v60, v19
	v_add_f16_sdwa v62, v62, v19 dst_sel:DWORD dst_unused:UNUSED_PAD src0_sel:DWORD src1_sel:WORD_1
	;; [unrolled: 2-line block ×7, first 2 shown]
	v_pk_add_f16 v20, v20, v19
	v_fma_f16 v19, v43, s15, v84
	v_add_f16_e32 v19, v19, v56
	v_mul_f16_sdwa v56, v43, s15 dst_sel:DWORD dst_unused:UNUSED_PAD src0_sel:WORD_1 src1_sel:DWORD
	v_fma_f16 v85, v44, s26, v56
	v_add_f16_e32 v57, v85, v57
	v_mul_f16_sdwa v85, v44, s0 dst_sel:DWORD dst_unused:UNUSED_PAD src0_sel:WORD_1 src1_sel:DWORD
	;; [unrolled: 3-line block ×10, first 2 shown]
	v_fma_f16 v94, v47, s19, v93
	v_add_f16_e32 v59, v94, v59
	s_movk_i32 s6, 0x31e1
	v_mul_f16_sdwa v94, v47, s19 dst_sel:DWORD dst_unused:UNUSED_PAD src0_sel:WORD_1 src1_sel:DWORD
	v_fma_f16 v95, v48, s6, v94
	v_add_f16_e32 v61, v95, v61
	v_mul_f16_sdwa v95, v50, s1 dst_sel:DWORD dst_unused:UNUSED_PAD src0_sel:WORD_1 src1_sel:DWORD
	v_fma_f16 v96, v49, s14, v95
	v_add_f16_e32 v19, v96, v19
	;; [unrolled: 3-line block ×9, first 2 shown]
	v_mul_f16_sdwa v103, v54, s25 dst_sel:DWORD dst_unused:UNUSED_PAD src0_sel:WORD_1 src1_sel:DWORD
	v_fma_f16 v104, v53, s18, v103
	v_mul_f16_sdwa v105, v53, s18 dst_sel:DWORD dst_unused:UNUSED_PAD src0_sel:WORD_1 src1_sel:DWORD
	v_add_f16_e32 v104, v104, v19
	v_fma_f16 v19, v54, s28, v105
	v_mul_f16_sdwa v106, v54, s23 dst_sel:DWORD dst_unused:UNUSED_PAD src0_sel:WORD_1 src1_sel:DWORD
	v_add_f16_e32 v57, v19, v57
	v_fma_f16 v19, v53, s13, v106
	v_mul_f16_sdwa v107, v53, s13 dst_sel:DWORD dst_unused:UNUSED_PAD src0_sel:WORD_1 src1_sel:DWORD
	v_add_f16_e32 v59, v19, v59
	v_fma_f16 v19, v54, s2, v107
	v_add_f16_e32 v61, v19, v61
	v_pk_add_f16 v19, v18, v17
	v_pk_add_f16 v17, v17, v18 neg_lo:[0,1] neg_hi:[0,1]
	v_mul_f16_sdwa v18, v17, s30 dst_sel:DWORD dst_unused:UNUSED_PAD src0_sel:WORD_1 src1_sel:DWORD
	v_fma_f16 v108, v19, s19, v18
	v_add_f16_e32 v104, v108, v104
	v_mul_f16_sdwa v108, v19, s19 dst_sel:DWORD dst_unused:UNUSED_PAD src0_sel:WORD_1 src1_sel:DWORD
	v_fma_f16 v109, v17, s6, v108
	v_add_f16_e32 v57, v109, v57
	;; [unrolled: 3-line block ×4, first 2 shown]
	v_pack_b32_f16 v59, v59, v61
	v_pack_b32_f16 v57, v104, v57
	s_barrier
	ds_write2_b32 v40, v57, v59 offset0:1 offset1:2
	v_mul_f16_sdwa v57, v44, s22 dst_sel:DWORD dst_unused:UNUSED_PAD src0_sel:WORD_1 src1_sel:DWORD
	v_fma_f16 v59, v43, s17, v57
	v_mul_f16_sdwa v61, v43, s17 dst_sel:DWORD dst_unused:UNUSED_PAD src0_sel:WORD_1 src1_sel:DWORD
	v_add_f16_e32 v59, v59, v63
	v_fma_f16 v63, v44, s27, v61
	v_add_f16_e32 v63, v63, v65
	v_mul_f16_sdwa v65, v44, s30 dst_sel:DWORD dst_unused:UNUSED_PAD src0_sel:WORD_1 src1_sel:DWORD
	v_fma_f16 v104, v43, s19, v65
	v_add_f16_e32 v67, v104, v67
	v_mul_f16_sdwa v104, v43, s19 dst_sel:DWORD dst_unused:UNUSED_PAD src0_sel:WORD_1 src1_sel:DWORD
	;; [unrolled: 3-line block ×25, first 2 shown]
	v_fma_f16 v134, v19, s15, v133
	v_pk_add_f16 v41, v42, v41
	v_fma_f16 v42, v43, s15, -v84
	v_add_f16_e32 v67, v134, v67
	v_mul_f16_sdwa v134, v19, s15 dst_sel:DWORD dst_unused:UNUSED_PAD src0_sel:WORD_1 src1_sel:DWORD
	v_add_f16_e32 v42, v42, v55
	v_fma_f16 v55, v44, s21, v56
	v_fma_f16 v135, v17, s21, v134
	v_add_f16_e32 v55, v55, v58
	v_fma_f16 v58, v44, s0, v86
	v_add_f16_e32 v69, v135, v69
	v_fma_f16 v56, v43, s12, -v85
	v_add_f16_e32 v58, v58, v62
	v_fma_f16 v57, v43, s17, -v57
	v_mul_f16_sdwa v62, v44, s28 dst_sel:DWORD dst_unused:UNUSED_PAD src0_sel:WORD_1 src1_sel:DWORD
	v_pack_b32_f16 v67, v67, v69
	v_pack_b32_f16 v59, v59, v63
	v_add_f16_e32 v56, v56, v60
	v_add_f16_e32 v57, v57, v64
	v_fma_f16 v60, v43, s19, -v65
	v_fma_f16 v63, v43, s18, v62
	v_mul_f16_sdwa v64, v43, s18 dst_sel:DWORD dst_unused:UNUSED_PAD src0_sel:WORD_1 src1_sel:DWORD
	v_fma_f16 v62, v43, s18, -v62
	ds_write2_b32 v40, v59, v67 offset0:3 offset1:4
	v_fma_f16 v59, v44, s22, v61
	v_add_f16_e32 v60, v60, v68
	v_fma_f16 v61, v44, s30, v104
	v_fma_f16 v65, v44, s25, v64
	v_add_f16_e32 v62, v62, v72
	v_mul_f16_sdwa v68, v43, s14 dst_sel:DWORD dst_unused:UNUSED_PAD src0_sel:WORD_1 src1_sel:DWORD
	v_mul_f16_sdwa v72, v43, s13 dst_sel:DWORD dst_unused:UNUSED_PAD src0_sel:WORD_1 src1_sel:DWORD
	v_add_f16_e32 v59, v59, v66
	v_add_f16_e32 v61, v61, v70
	;; [unrolled: 1-line block ×3, first 2 shown]
	v_fma_f16 v64, v44, s28, v64
	v_mul_f16_sdwa v66, v44, s3 dst_sel:DWORD dst_unused:UNUSED_PAD src0_sel:WORD_1 src1_sel:DWORD
	v_fma_f16 v69, v44, s1, v68
	v_fma_f16 v68, v44, s3, v68
	v_mul_f16_sdwa v70, v44, s23 dst_sel:DWORD dst_unused:UNUSED_PAD src0_sel:WORD_1 src1_sel:DWORD
	v_fma_f16 v73, v44, s2, v72
	v_fma_f16 v72, v44, s23, v72
	v_pk_mul_f16 v44, v44, s29 op_sel_hi:[1,0]
	v_add_f16_e32 v63, v63, v71
	v_add_f16_e32 v64, v64, v74
	v_fma_f16 v67, v43, s14, v66
	v_fma_f16 v66, v43, s14, -v66
	v_fma_f16 v71, v43, s13, v70
	v_fma_f16 v70, v43, s13, -v70
	v_pk_fma_f16 v74, v43, s16, v44 op_sel:[0,0,1] op_sel_hi:[1,0,0]
	v_pk_fma_f16 v43, v43, s16, v44 op_sel:[0,0,1] op_sel_hi:[1,0,0] neg_lo:[0,0,1] neg_hi:[0,0,1]
	v_pk_add_f16 v20, v43, v20
	v_fma_f16 v43, v45, s13, -v87
	v_add_f16_e32 v42, v43, v42
	v_fma_f16 v43, v46, s2, v88
	v_fma_f16 v44, v45, s17, -v89
	v_add_f16_e32 v43, v43, v55
	v_add_f16_e32 v44, v44, v56
	v_fma_f16 v55, v46, s22, v90
	v_fma_f16 v56, v45, s19, -v111
	v_add_f16_e32 v55, v55, v58
	;; [unrolled: 4-line block ×3, first 2 shown]
	v_add_f16_e32 v58, v58, v60
	v_fma_f16 v59, v46, s3, v114
	v_mul_f16_sdwa v60, v46, s26 dst_sel:DWORD dst_unused:UNUSED_PAD src0_sel:WORD_1 src1_sel:DWORD
	v_add_f16_e32 v59, v59, v61
	v_fma_f16 v61, v45, s15, v60
	v_add_f16_e32 v61, v61, v63
	v_mul_f16_sdwa v63, v45, s15 dst_sel:DWORD dst_unused:UNUSED_PAD src0_sel:WORD_1 src1_sel:DWORD
	v_fma_f16 v60, v45, s15, -v60
	v_add_f16_e32 v67, v67, v75
	v_fma_f16 v75, v46, s21, v63
	v_add_f16_e32 v60, v60, v62
	v_fma_f16 v62, v46, s26, v63
	v_mul_f16_sdwa v63, v46, s24 dst_sel:DWORD dst_unused:UNUSED_PAD src0_sel:WORD_1 src1_sel:DWORD
	v_add_f16_e32 v62, v62, v64
	v_fma_f16 v64, v45, s16, v63
	v_add_f16_e32 v66, v66, v76
	v_add_f16_e32 v64, v64, v67
	v_mul_f16_sdwa v67, v45, s16 dst_sel:DWORD dst_unused:UNUSED_PAD src0_sel:WORD_1 src1_sel:DWORD
	v_fma_f16 v63, v45, s16, -v63
	v_add_f16_e32 v68, v68, v78
	v_add_f16_e32 v65, v75, v65
	v_fma_f16 v75, v46, s29, v67
	v_add_f16_e32 v63, v63, v66
	v_fma_f16 v66, v46, s24, v67
	v_mul_f16_sdwa v67, v46, s0 dst_sel:DWORD dst_unused:UNUSED_PAD src0_sel:WORD_1 src1_sel:DWORD
	v_add_f16_e32 v71, v71, v79
	v_add_f16_e32 v66, v66, v68
	v_fma_f16 v68, v45, s12, v67
	v_add_f16_e32 v69, v69, v77
	v_add_f16_e32 v70, v70, v80
	;; [unrolled: 1-line block ×3, first 2 shown]
	v_mul_f16_sdwa v71, v45, s12 dst_sel:DWORD dst_unused:UNUSED_PAD src0_sel:WORD_1 src1_sel:DWORD
	v_fma_f16 v67, v45, s12, -v67
	v_add_f16_e32 v69, v75, v69
	v_fma_f16 v75, v46, s20, v71
	v_add_f16_e32 v67, v67, v70
	v_fma_f16 v70, v46, s0, v71
	v_pk_mul_f16 v46, v46, s25 op_sel_hi:[1,0]
	v_pk_fma_f16 v71, v45, s18, v46 op_sel:[0,0,1] op_sel_hi:[1,0,0]
	v_pk_fma_f16 v45, v45, s18, v46 op_sel:[0,0,1] op_sel_hi:[1,0,0] neg_lo:[0,0,1] neg_hi:[0,0,1]
	v_pk_add_f16 v20, v45, v20
	v_fma_f16 v45, v47, s12, -v91
	v_add_f16_e32 v42, v45, v42
	v_fma_f16 v45, v48, s0, v92
	v_add_f16_e32 v43, v45, v43
	v_fma_f16 v45, v47, s19, -v93
	v_add_f16_e32 v44, v45, v44
	v_fma_f16 v45, v48, s30, v94
	v_fma_f16 v46, v47, s14, -v115
	v_add_f16_e32 v45, v45, v55
	v_add_f16_e32 v46, v46, v56
	v_fma_f16 v55, v48, s3, v116
	v_fma_f16 v56, v47, s16, -v117
	v_add_f16_e32 v55, v55, v57
	v_add_f16_e32 v56, v56, v58
	v_fma_f16 v57, v48, s29, v118
	v_mul_f16_sdwa v58, v48, s2 dst_sel:DWORD dst_unused:UNUSED_PAD src0_sel:WORD_1 src1_sel:DWORD
	v_add_f16_e32 v57, v57, v59
	v_fma_f16 v59, v47, s13, v58
	v_add_f16_e32 v72, v72, v82
	v_add_f16_e32 v59, v59, v61
	v_mul_f16_sdwa v61, v47, s13 dst_sel:DWORD dst_unused:UNUSED_PAD src0_sel:WORD_1 src1_sel:DWORD
	v_fma_f16 v58, v47, s13, -v58
	v_add_f16_e32 v70, v70, v72
	v_fma_f16 v72, v48, s23, v61
	v_add_f16_e32 v58, v58, v60
	v_fma_f16 v60, v48, s2, v61
	v_mul_f16_sdwa v61, v48, s25 dst_sel:DWORD dst_unused:UNUSED_PAD src0_sel:WORD_1 src1_sel:DWORD
	v_add_f16_e32 v60, v60, v62
	v_fma_f16 v62, v47, s18, v61
	v_add_f16_e32 v62, v62, v64
	v_mul_f16_sdwa v64, v47, s18 dst_sel:DWORD dst_unused:UNUSED_PAD src0_sel:WORD_1 src1_sel:DWORD
	v_fma_f16 v61, v47, s18, -v61
	v_add_f16_e32 v65, v72, v65
	v_fma_f16 v72, v48, s28, v64
	v_add_f16_e32 v61, v61, v63
	v_fma_f16 v63, v48, s25, v64
	v_mul_f16_sdwa v64, v48, s27 dst_sel:DWORD dst_unused:UNUSED_PAD src0_sel:WORD_1 src1_sel:DWORD
	v_add_f16_e32 v63, v63, v66
	v_fma_f16 v66, v47, s17, v64
	v_add_f16_e32 v66, v66, v68
	v_mul_f16_sdwa v68, v47, s17 dst_sel:DWORD dst_unused:UNUSED_PAD src0_sel:WORD_1 src1_sel:DWORD
	v_fma_f16 v64, v47, s17, -v64
	v_add_f16_e32 v69, v72, v69
	v_fma_f16 v72, v48, s22, v68
	v_add_f16_e32 v64, v64, v67
	v_fma_f16 v67, v48, s27, v68
	v_pk_mul_f16 v48, v48, s26 op_sel_hi:[1,0]
	v_pk_fma_f16 v68, v47, s15, v48 op_sel:[0,0,1] op_sel_hi:[1,0,0]
	v_pk_fma_f16 v47, v47, s15, v48 op_sel:[0,0,1] op_sel_hi:[1,0,0] neg_lo:[0,0,1] neg_hi:[0,0,1]
	v_pk_add_f16 v20, v47, v20
	v_fma_f16 v47, v49, s14, -v95
	v_add_f16_e32 v42, v47, v42
	v_fma_f16 v47, v50, s1, v96
	v_add_f16_e32 v43, v47, v43
	v_fma_f16 v47, v49, s18, -v97
	v_add_f16_e32 v44, v47, v44
	v_fma_f16 v47, v50, s28, v98
	v_add_f16_e32 v45, v47, v45
	v_fma_f16 v47, v49, s15, -v119
	v_add_f16_e32 v46, v47, v46
	v_fma_f16 v47, v50, s26, v120
	v_fma_f16 v48, v49, s13, -v121
	v_add_f16_e32 v47, v47, v55
	v_add_f16_e32 v48, v48, v56
	v_fma_f16 v55, v50, s2, v122
	v_mul_f16_sdwa v56, v50, s30 dst_sel:DWORD dst_unused:UNUSED_PAD src0_sel:WORD_1 src1_sel:DWORD
	v_add_f16_e32 v55, v55, v57
	v_fma_f16 v57, v49, s19, v56
	v_add_f16_e32 v57, v57, v59
	v_mul_f16_sdwa v59, v49, s19 dst_sel:DWORD dst_unused:UNUSED_PAD src0_sel:WORD_1 src1_sel:DWORD
	v_fma_f16 v56, v49, s19, -v56
	v_add_f16_e32 v67, v67, v70
	v_fma_f16 v70, v50, s6, v59
	v_add_f16_e32 v56, v56, v58
	v_fma_f16 v58, v50, s30, v59
	v_mul_f16_sdwa v59, v50, s20 dst_sel:DWORD dst_unused:UNUSED_PAD src0_sel:WORD_1 src1_sel:DWORD
	v_add_f16_e32 v58, v58, v60
	v_fma_f16 v60, v49, s12, v59
	v_add_f16_e32 v60, v60, v62
	v_mul_f16_sdwa v62, v49, s12 dst_sel:DWORD dst_unused:UNUSED_PAD src0_sel:WORD_1 src1_sel:DWORD
	v_fma_f16 v59, v49, s12, -v59
	v_add_f16_e32 v65, v70, v65
	v_fma_f16 v70, v50, s0, v62
	;; [unrolled: 10-line block ×3, first 2 shown]
	v_add_f16_e32 v62, v62, v64
	v_fma_f16 v64, v50, s24, v66
	v_pk_mul_f16 v50, v50, s22 op_sel_hi:[1,0]
	v_pk_fma_f16 v66, v49, s17, v50 op_sel:[0,0,1] op_sel_hi:[1,0,0]
	v_pk_fma_f16 v49, v49, s17, v50 op_sel:[0,0,1] op_sel_hi:[1,0,0] neg_lo:[0,0,1] neg_hi:[0,0,1]
	v_pk_add_f16 v20, v49, v20
	v_fma_f16 v49, v51, s17, -v99
	v_add_f16_e32 v42, v49, v42
	v_fma_f16 v49, v52, s22, v100
	v_add_f16_e32 v43, v49, v43
	v_fma_f16 v49, v51, s14, -v101
	v_add_f16_e32 v44, v49, v44
	v_fma_f16 v49, v52, s3, v102
	v_add_f16_e32 v45, v49, v45
	;; [unrolled: 4-line block ×3, first 2 shown]
	v_fma_f16 v49, v51, s18, -v125
	v_add_f16_e32 v48, v49, v48
	v_fma_f16 v49, v52, s25, v126
	v_mul_f16_sdwa v50, v52, s20 dst_sel:DWORD dst_unused:UNUSED_PAD src0_sel:WORD_1 src1_sel:DWORD
	v_add_f16_e32 v49, v49, v55
	v_fma_f16 v55, v51, s12, v50
	v_add_f16_e32 v55, v55, v57
	v_mul_f16_sdwa v57, v51, s12 dst_sel:DWORD dst_unused:UNUSED_PAD src0_sel:WORD_1 src1_sel:DWORD
	v_fma_f16 v50, v51, s12, -v50
	v_add_f16_e32 v64, v64, v67
	v_fma_f16 v67, v52, s0, v57
	v_add_f16_e32 v50, v50, v56
	v_fma_f16 v56, v52, s20, v57
	v_mul_f16_sdwa v57, v52, s21 dst_sel:DWORD dst_unused:UNUSED_PAD src0_sel:WORD_1 src1_sel:DWORD
	v_add_f16_e32 v56, v56, v58
	v_fma_f16 v58, v51, s15, v57
	v_add_f16_e32 v58, v58, v60
	v_mul_f16_sdwa v60, v51, s15 dst_sel:DWORD dst_unused:UNUSED_PAD src0_sel:WORD_1 src1_sel:DWORD
	v_fma_f16 v57, v51, s15, -v57
	v_pk_add_f16 v74, v74, v83
	v_add_f16_e32 v65, v67, v65
	v_fma_f16 v67, v52, s26, v60
	v_add_f16_e32 v57, v57, v59
	v_fma_f16 v59, v52, s21, v60
	v_mul_f16_sdwa v60, v52, s30 dst_sel:DWORD dst_unused:UNUSED_PAD src0_sel:WORD_1 src1_sel:DWORD
	v_pk_add_f16 v71, v71, v74
	v_add_f16_e32 v59, v59, v61
	v_fma_f16 v61, v51, s19, v60
	v_pk_add_f16 v68, v68, v71
	v_add_f16_e32 v61, v61, v63
	v_mul_f16_sdwa v63, v51, s19 dst_sel:DWORD dst_unused:UNUSED_PAD src0_sel:WORD_1 src1_sel:DWORD
	v_fma_f16 v60, v51, s19, -v60
	v_pk_add_f16 v66, v66, v68
	v_fma_f16 v68, v52, s6, v63
	v_add_f16_e32 v60, v60, v62
	v_fma_f16 v62, v52, s30, v63
	v_pk_mul_f16 v52, v52, s23 op_sel_hi:[1,0]
	v_pk_fma_f16 v63, v51, s13, v52 op_sel:[0,0,1] op_sel_hi:[1,0,0]
	v_pk_fma_f16 v51, v51, s13, v52 op_sel:[0,0,1] op_sel_hi:[1,0,0] neg_lo:[0,0,1] neg_hi:[0,0,1]
	v_pk_add_f16 v20, v51, v20
	v_fma_f16 v51, v53, s18, -v103
	v_add_f16_e32 v42, v51, v42
	v_fma_f16 v51, v54, s25, v105
	v_add_f16_e32 v43, v51, v43
	v_fma_f16 v51, v53, s13, -v106
	v_add_f16_e32 v44, v51, v44
	v_fma_f16 v51, v54, s23, v107
	v_add_f16_e32 v45, v51, v45
	;; [unrolled: 4-line block ×4, first 2 shown]
	v_mul_f16_sdwa v51, v54, s24 dst_sel:DWORD dst_unused:UNUSED_PAD src0_sel:WORD_1 src1_sel:DWORD
	v_fma_f16 v52, v53, s16, v51
	v_add_f16_e32 v52, v52, v55
	v_mul_f16_sdwa v55, v53, s16 dst_sel:DWORD dst_unused:UNUSED_PAD src0_sel:WORD_1 src1_sel:DWORD
	v_fma_f16 v51, v53, s16, -v51
	v_fma_f16 v18, v19, s19, -v18
	v_add_f16_e32 v62, v62, v64
	v_fma_f16 v64, v54, s29, v55
	v_add_f16_e32 v50, v51, v50
	v_fma_f16 v51, v54, s24, v55
	v_mul_f16_sdwa v55, v54, s30 dst_sel:DWORD dst_unused:UNUSED_PAD src0_sel:WORD_1 src1_sel:DWORD
	v_add_f16_e32 v18, v18, v42
	v_fma_f16 v42, v17, s30, v108
	v_add_f16_e32 v51, v51, v56
	v_fma_f16 v56, v53, s19, v55
	v_add_f16_e32 v42, v42, v43
	v_fma_f16 v43, v19, s16, -v109
	v_add_f16_e32 v56, v56, v58
	v_mul_f16_sdwa v58, v53, s19 dst_sel:DWORD dst_unused:UNUSED_PAD src0_sel:WORD_1 src1_sel:DWORD
	v_fma_f16 v55, v53, s19, -v55
	v_add_f16_e32 v43, v43, v44
	v_fma_f16 v44, v17, s29, v110
	v_add_f16_e32 v64, v64, v65
	v_fma_f16 v65, v54, s6, v58
	;; [unrolled: 2-line block ×3, first 2 shown]
	v_mul_f16_sdwa v58, v54, s26 dst_sel:DWORD dst_unused:UNUSED_PAD src0_sel:WORD_1 src1_sel:DWORD
	v_add_f16_e32 v44, v44, v45
	v_fma_f16 v45, v19, s18, -v131
	v_add_f16_e32 v57, v57, v59
	v_fma_f16 v59, v53, s15, v58
	v_add_f16_e32 v45, v45, v46
	v_fma_f16 v46, v17, s25, v132
	v_add_f16_e32 v59, v59, v61
	v_mul_f16_sdwa v61, v53, s15 dst_sel:DWORD dst_unused:UNUSED_PAD src0_sel:WORD_1 src1_sel:DWORD
	v_fma_f16 v58, v53, s15, -v58
	v_add_f16_e32 v46, v46, v47
	v_fma_f16 v47, v19, s15, -v133
	v_pk_add_f16 v63, v63, v66
	v_fma_f16 v66, v54, s21, v61
	v_add_f16_e32 v58, v58, v60
	v_fma_f16 v60, v54, s26, v61
	v_pk_mul_f16 v54, v54, s1 op_sel_hi:[1,0]
	v_add_f16_e32 v47, v47, v48
	v_fma_f16 v48, v17, s26, v134
	v_pk_fma_f16 v61, v53, s14, v54 op_sel:[0,0,1] op_sel_hi:[1,0,0]
	v_pk_fma_f16 v53, v53, s14, v54 op_sel:[0,0,1] op_sel_hi:[1,0,0] neg_lo:[0,0,1] neg_hi:[0,0,1]
	v_add_f16_e32 v48, v48, v49
	v_mul_f16_sdwa v49, v17, s22 dst_sel:DWORD dst_unused:UNUSED_PAD src0_sel:WORD_1 src1_sel:DWORD
	v_pk_add_f16 v20, v53, v20
	v_fma_f16 v53, v19, s17, v49
	v_add_f16_e32 v52, v53, v52
	v_mul_f16_sdwa v53, v19, s17 dst_sel:DWORD dst_unused:UNUSED_PAD src0_sel:WORD_1 src1_sel:DWORD
	v_fma_f16 v49, v19, s17, -v49
	v_add_f16_e32 v49, v49, v50
	v_fma_f16 v50, v17, s22, v53
	v_add_f16_e32 v50, v50, v51
	v_mul_f16_sdwa v51, v17, s23 dst_sel:DWORD dst_unused:UNUSED_PAD src0_sel:WORD_1 src1_sel:DWORD
	v_fma_f16 v54, v17, s27, v53
	v_fma_f16 v53, v19, s13, v51
	v_add_f16_e32 v73, v73, v81
	v_add_f16_e32 v53, v53, v56
	v_mul_f16_sdwa v56, v19, s13 dst_sel:DWORD dst_unused:UNUSED_PAD src0_sel:WORD_1 src1_sel:DWORD
	v_fma_f16 v51, v19, s13, -v51
	v_add_f16_e32 v73, v75, v73
	v_add_f16_e32 v60, v60, v62
	v_fma_f16 v62, v17, s2, v56
	v_add_f16_e32 v51, v51, v55
	v_fma_f16 v55, v17, s23, v56
	v_mul_f16_sdwa v56, v17, s1 dst_sel:DWORD dst_unused:UNUSED_PAD src0_sel:WORD_1 src1_sel:DWORD
	v_add_f16_e32 v72, v72, v73
	v_add_f16_e32 v55, v55, v57
	v_fma_f16 v57, v19, s14, v56
	v_add_f16_e32 v70, v70, v72
	v_add_f16_e32 v67, v67, v69
	;; [unrolled: 1-line block ×3, first 2 shown]
	v_mul_f16_sdwa v59, v19, s14 dst_sel:DWORD dst_unused:UNUSED_PAD src0_sel:WORD_1 src1_sel:DWORD
	v_fma_f16 v56, v19, s14, -v56
	v_add_f16_e32 v68, v68, v70
	v_add_f16_e32 v65, v65, v67
	v_pk_add_f16 v61, v61, v63
	v_fma_f16 v63, v17, s3, v59
	v_add_f16_e32 v56, v56, v58
	v_fma_f16 v58, v17, s1, v59
	v_pk_mul_f16 v17, v17, s20 op_sel_hi:[1,0]
	v_add_f16_e32 v66, v66, v68
	v_add_f16_e32 v54, v54, v64
	;; [unrolled: 1-line block ×3, first 2 shown]
	v_pk_fma_f16 v59, v19, s12, v17 op_sel:[0,0,1] op_sel_hi:[1,0,0]
	v_pk_fma_f16 v17, v19, s12, v17 op_sel:[0,0,1] op_sel_hi:[1,0,0] neg_lo:[0,0,1] neg_hi:[0,0,1]
	v_add_f16_e32 v63, v63, v66
	v_pk_add_f16 v17, v17, v20
	v_pack_b32_f16 v19, v53, v62
	v_pack_b32_f16 v20, v52, v54
	v_pk_add_f16 v59, v59, v61
	ds_write2_b32 v40, v20, v19 offset0:5 offset1:6
	v_pack_b32_f16 v19, v57, v63
	s_mov_b32 s7, 0xffff
	v_add_f16_e32 v58, v58, v60
	ds_write2_b32 v40, v41, v19 offset1:7
	v_bfi_b32 v19, s7, v17, v59
	v_bfi_b32 v17, s7, v59, v17
	ds_write2_b32 v40, v17, v19 offset0:8 offset1:9
	v_pack_b32_f16 v17, v51, v55
	v_pack_b32_f16 v19, v56, v58
	ds_write2_b32 v40, v19, v17 offset0:10 offset1:11
	v_pack_b32_f16 v17, v47, v48
	v_pack_b32_f16 v19, v49, v50
	;; [unrolled: 3-line block ×3, first 2 shown]
	ds_write2_b32 v40, v19, v17 offset0:14 offset1:15
	v_pack_b32_f16 v17, v18, v42
	ds_write_b32 v40, v17 offset:64
	s_waitcnt lgkmcnt(0)
	s_barrier
	ds_read2_b32 v[40:41], v21 offset1:17
	ds_read2_b32 v[17:18], v21 offset0:34 offset1:51
	ds_read2_b32 v[19:20], v21 offset0:68 offset1:85
	;; [unrolled: 1-line block ×4, first 2 shown]
	s_waitcnt lgkmcnt(4)
	v_lshrrev_b32_e32 v48, 16, v41
	s_waitcnt lgkmcnt(3)
	v_lshrrev_b32_e32 v49, 16, v17
	v_mul_f16_sdwa v57, v5, v49 dst_sel:DWORD dst_unused:UNUSED_PAD src0_sel:WORD_1 src1_sel:DWORD
	v_fma_f16 v57, v5, v17, v57
	v_mul_f16_sdwa v17, v5, v17 dst_sel:DWORD dst_unused:UNUSED_PAD src0_sel:WORD_1 src1_sel:DWORD
	v_fma_f16 v49, v5, v49, -v17
	v_mul_f16_sdwa v17, v4, v41 dst_sel:DWORD dst_unused:UNUSED_PAD src0_sel:WORD_1 src1_sel:DWORD
	v_fma_f16 v59, v4, v48, -v17
	v_mul_f16_sdwa v17, v4, v48 dst_sel:DWORD dst_unused:UNUSED_PAD src0_sel:WORD_1 src1_sel:DWORD
	s_waitcnt lgkmcnt(2)
	v_lshrrev_b32_e32 v51, 16, v19
	v_fma_f16 v48, v4, v41, v17
	v_mul_f16_sdwa v4, v7, v19 dst_sel:DWORD dst_unused:UNUSED_PAD src0_sel:WORD_1 src1_sel:DWORD
	v_lshrrev_b32_e32 v52, 16, v20
	v_fma_f16 v60, v7, v51, -v4
	v_mul_f16_sdwa v4, v7, v51 dst_sel:DWORD dst_unused:UNUSED_PAD src0_sel:WORD_1 src1_sel:DWORD
	v_fma_f16 v51, v7, v19, v4
	v_mul_f16_sdwa v4, v8, v52 dst_sel:DWORD dst_unused:UNUSED_PAD src0_sel:WORD_1 src1_sel:DWORD
	s_waitcnt lgkmcnt(1)
	v_lshrrev_b32_e32 v53, 16, v42
	v_fma_f16 v19, v8, v20, v4
	v_mul_f16_sdwa v4, v8, v20 dst_sel:DWORD dst_unused:UNUSED_PAD src0_sel:WORD_1 src1_sel:DWORD
	v_lshrrev_b32_e32 v50, 16, v18
	ds_read2_b32 v[46:47], v21 offset0:170 offset1:187
	v_fma_f16 v20, v8, v52, -v4
	v_mul_f16_sdwa v4, v9, v53 dst_sel:DWORD dst_unused:UNUSED_PAD src0_sel:WORD_1 src1_sel:DWORD
	v_lshrrev_b32_e32 v54, 16, v43
	v_mul_f16_sdwa v5, v6, v50 dst_sel:DWORD dst_unused:UNUSED_PAD src0_sel:WORD_1 src1_sel:DWORD
	v_fma_f16 v17, v9, v42, v4
	v_mul_f16_sdwa v4, v9, v42 dst_sel:DWORD dst_unused:UNUSED_PAD src0_sel:WORD_1 src1_sel:DWORD
	s_waitcnt lgkmcnt(1)
	v_lshrrev_b32_e32 v55, 16, v44
	v_fma_f16 v58, v6, v18, v5
	v_mul_f16_sdwa v5, v6, v18 dst_sel:DWORD dst_unused:UNUSED_PAD src0_sel:WORD_1 src1_sel:DWORD
	v_fma_f16 v18, v9, v53, -v4
	v_mul_f16_sdwa v4, v10, v54 dst_sel:DWORD dst_unused:UNUSED_PAD src0_sel:WORD_1 src1_sel:DWORD
	ds_read2_b32 v[41:42], v21 offset0:204 offset1:221
	v_fma_f16 v50, v6, v50, -v5
	v_fma_f16 v8, v10, v43, v4
	v_mul_f16_sdwa v4, v10, v43 dst_sel:DWORD dst_unused:UNUSED_PAD src0_sel:WORD_1 src1_sel:DWORD
	v_mul_f16_sdwa v5, v11, v55 dst_sel:DWORD dst_unused:UNUSED_PAD src0_sel:WORD_1 src1_sel:DWORD
	v_fma_f16 v9, v10, v54, -v4
	v_mul_f16_sdwa v4, v11, v44 dst_sel:DWORD dst_unused:UNUSED_PAD src0_sel:WORD_1 src1_sel:DWORD
	v_fma_f16 v5, v11, v44, v5
	ds_read2_b32 v[43:44], v21 offset0:238 offset1:255
	v_lshrrev_b32_e32 v56, 16, v45
	s_waitcnt lgkmcnt(2)
	v_lshrrev_b32_e32 v61, 16, v46
	v_lshrrev_b32_e32 v62, 16, v47
	v_fma_f16 v4, v11, v55, -v4
	v_mul_f16_sdwa v6, v12, v56 dst_sel:DWORD dst_unused:UNUSED_PAD src0_sel:WORD_1 src1_sel:DWORD
	v_mul_f16_sdwa v7, v12, v45 dst_sel:DWORD dst_unused:UNUSED_PAD src0_sel:WORD_1 src1_sel:DWORD
	;; [unrolled: 1-line block ×4, first 2 shown]
	s_waitcnt lgkmcnt(1)
	v_lshrrev_b32_e32 v52, 16, v41
	v_lshrrev_b32_e32 v53, 16, v42
	v_fma_f16 v6, v12, v45, v6
	v_fma_f16 v7, v12, v56, -v7
	v_fma_f16 v10, v13, v46, v10
	v_fma_f16 v11, v13, v61, -v11
	v_mul_f16_sdwa v12, v14, v62 dst_sel:DWORD dst_unused:UNUSED_PAD src0_sel:WORD_1 src1_sel:DWORD
	v_mul_f16_sdwa v13, v14, v47 dst_sel:DWORD dst_unused:UNUSED_PAD src0_sel:WORD_1 src1_sel:DWORD
	v_fma_f16 v12, v14, v47, v12
	v_fma_f16 v13, v14, v62, -v13
	v_mul_f16_sdwa v14, v15, v41 dst_sel:DWORD dst_unused:UNUSED_PAD src0_sel:WORD_1 src1_sel:DWORD
	v_mul_f16_sdwa v45, v15, v52 dst_sel:DWORD dst_unused:UNUSED_PAD src0_sel:WORD_1 src1_sel:DWORD
	ds_read_b32 v46, v21 offset:1088
	v_mul_f16_sdwa v47, v0, v53 dst_sel:DWORD dst_unused:UNUSED_PAD src0_sel:WORD_1 src1_sel:DWORD
	v_fma_f16 v14, v15, v52, -v14
	v_fma_f16 v15, v15, v41, v45
	s_waitcnt lgkmcnt(1)
	v_lshrrev_b32_e32 v41, 16, v43
	v_fma_f16 v47, v0, v42, v47
	v_mul_f16_sdwa v42, v0, v42 dst_sel:DWORD dst_unused:UNUSED_PAD src0_sel:WORD_1 src1_sel:DWORD
	v_fma_f16 v42, v0, v53, -v42
	v_mul_f16_sdwa v0, v1, v41 dst_sel:DWORD dst_unused:UNUSED_PAD src0_sel:WORD_1 src1_sel:DWORD
	v_lshrrev_b32_e32 v45, 16, v44
	v_fma_f16 v52, v1, v43, v0
	v_mul_f16_sdwa v0, v1, v43 dst_sel:DWORD dst_unused:UNUSED_PAD src0_sel:WORD_1 src1_sel:DWORD
	v_fma_f16 v1, v1, v41, -v0
	v_mul_f16_sdwa v0, v2, v45 dst_sel:DWORD dst_unused:UNUSED_PAD src0_sel:WORD_1 src1_sel:DWORD
	v_fma_f16 v41, v2, v44, v0
	v_mul_f16_sdwa v0, v2, v44 dst_sel:DWORD dst_unused:UNUSED_PAD src0_sel:WORD_1 src1_sel:DWORD
	s_waitcnt lgkmcnt(0)
	v_lshrrev_b32_e32 v43, 16, v46
	v_fma_f16 v2, v2, v45, -v0
	v_mul_f16_sdwa v0, v3, v43 dst_sel:DWORD dst_unused:UNUSED_PAD src0_sel:WORD_1 src1_sel:DWORD
	v_mul_f16_sdwa v44, v3, v46 dst_sel:DWORD dst_unused:UNUSED_PAD src0_sel:WORD_1 src1_sel:DWORD
	v_fma_f16 v0, v3, v46, v0
	v_fma_f16 v3, v3, v43, -v44
	v_sub_f16_e32 v44, v59, v3
	v_add_f16_e32 v43, v48, v0
	v_mul_f16_e32 v45, 0xb5c8, v44
	v_mul_f16_e32 v53, 0xb964, v44
	v_mul_f16_e32 v55, 0xbb29, v44
	v_mul_f16_e32 v61, 0xbbf7, v44
	v_mul_f16_e32 v63, 0xbbb2, v44
	v_mul_f16_e32 v65, 0xba62, v44
	v_mul_f16_e32 v67, 0xb836, v44
	v_mul_f16_e32 v44, 0xb1e1, v44
	v_fma_f16 v46, v43, s16, v45
	v_fma_f16 v45, v43, s16, -v45
	v_fma_f16 v54, v43, s15, v53
	v_fma_f16 v53, v43, s15, -v53
	;; [unrolled: 2-line block ×8, first 2 shown]
	v_add_f16_e32 v44, v59, v3
	v_sub_f16_e32 v70, v48, v0
	v_mul_f16_e32 v71, 0x3b76, v44
	v_mul_f16_e32 v73, 0x39e9, v44
	;; [unrolled: 1-line block ×8, first 2 shown]
	v_fma_f16 v72, v70, s29, v71
	v_fma_f16 v71, v70, s24, v71
	;; [unrolled: 1-line block ×16, first 2 shown]
	v_add_f16_e32 v48, v48, v40
	v_add_f16_sdwa v59, v59, v40 dst_sel:DWORD dst_unused:UNUSED_PAD src0_sel:DWORD src1_sel:WORD_1
	v_add_f16_e32 v46, v46, v40
	v_add_f16_sdwa v70, v72, v40 dst_sel:DWORD dst_unused:UNUSED_PAD src0_sel:DWORD src1_sel:WORD_1
	;; [unrolled: 2-line block ×17, first 2 shown]
	v_add_f16_e32 v44, v48, v57
	v_add_f16_e32 v44, v44, v58
	;; [unrolled: 1-line block ×29, first 2 shown]
	v_add_f16_sdwa v3, v44, v3 dst_sel:WORD_1 dst_unused:UNUSED_PAD src0_sel:DWORD src1_sel:DWORD
	v_add_f16_e32 v44, v49, v2
	v_sub_f16_e32 v2, v49, v2
	v_or_b32_e32 v0, v3, v0
	v_add_f16_e32 v3, v57, v41
	v_mul_f16_e32 v48, 0xb964, v2
	v_fma_f16 v49, v3, s15, v48
	v_sub_f16_e32 v41, v57, v41
	v_add_f16_e32 v46, v49, v46
	v_mul_f16_e32 v49, 0x39e9, v44
	v_fma_f16 v48, v3, s15, -v48
	v_fma_f16 v57, v41, s26, v49
	v_add_f16_e32 v45, v48, v45
	v_fma_f16 v48, v41, s21, v49
	v_mul_f16_e32 v49, 0xbbf7, v2
	v_fma_f16 v59, v3, s12, v49
	v_add_f16_e32 v54, v59, v54
	v_mul_f16_e32 v59, 0x2de8, v44
	v_fma_f16 v49, v3, s12, -v49
	v_add_f16_e32 v57, v57, v70
	v_fma_f16 v70, v41, s20, v59
	v_add_f16_e32 v49, v49, v53
	v_fma_f16 v53, v41, s0, v59
	v_mul_f16_e32 v59, 0xba62, v2
	v_add_f16_e32 v48, v48, v71
	v_fma_f16 v71, v3, s17, v59
	v_add_f16_e32 v56, v71, v56
	v_mul_f16_e32 v71, 0xb8d2, v44
	v_fma_f16 v59, v3, s17, -v59
	v_add_f16_e32 v70, v70, v72
	v_fma_f16 v72, v41, s27, v71
	v_add_f16_e32 v55, v59, v55
	v_fma_f16 v59, v41, s22, v71
	v_mul_f16_e32 v71, 0xb1e1, v2
	v_add_f16_e32 v53, v53, v73
	;; [unrolled: 10-line block ×5, first 2 shown]
	v_fma_f16 v79, v3, s13, v77
	v_add_f16_e32 v68, v79, v68
	v_mul_f16_e32 v79, 0x3722, v44
	v_fma_f16 v77, v3, s13, -v77
	v_mul_f16_e32 v2, 0x35c8, v2
	v_add_f16_e32 v78, v78, v80
	v_fma_f16 v80, v41, s2, v79
	v_add_f16_e32 v67, v77, v67
	v_fma_f16 v77, v41, s23, v79
	v_fma_f16 v79, v3, s16, v2
	v_mul_f16_e32 v44, 0x3b76, v44
	v_fma_f16 v2, v3, s16, -v2
	v_add_f16_e32 v2, v2, v43
	v_fma_f16 v3, v41, s29, v44
	v_add_f16_e32 v43, v50, v1
	v_sub_f16_e32 v1, v50, v1
	v_add_f16_e32 v69, v79, v69
	v_fma_f16 v79, v41, s24, v44
	v_add_f16_e32 v3, v3, v40
	v_add_f16_e32 v40, v58, v52
	v_mul_f16_e32 v44, 0xbb29, v1
	v_fma_f16 v50, v40, s13, v44
	v_sub_f16_e32 v41, v58, v52
	v_add_f16_e32 v46, v50, v46
	v_mul_f16_e32 v50, 0x3722, v43
	v_fma_f16 v44, v40, s13, -v44
	v_add_f16_e32 v44, v44, v45
	v_fma_f16 v45, v41, s2, v50
	v_add_f16_e32 v45, v45, v48
	v_mul_f16_e32 v48, 0xba62, v1
	v_fma_f16 v52, v41, s23, v50
	v_fma_f16 v50, v40, s17, v48
	v_add_f16_e32 v50, v50, v54
	v_mul_f16_e32 v54, 0xb8d2, v43
	v_fma_f16 v48, v40, s17, -v48
	v_add_f16_e32 v48, v48, v49
	v_fma_f16 v49, v41, s22, v54
	v_add_f16_e32 v49, v49, v53
	v_mul_f16_e32 v53, 0x31e1, v1
	v_add_f16_e32 v52, v52, v57
	v_fma_f16 v57, v41, s27, v54
	v_fma_f16 v54, v40, s19, v53
	v_add_f16_e32 v54, v54, v56
	v_mul_f16_e32 v56, 0xbbdd, v43
	v_fma_f16 v53, v40, s19, -v53
	v_fma_f16 v58, v41, s30, v56
	v_add_f16_e32 v53, v53, v55
	v_fma_f16 v55, v41, s6, v56
	v_mul_f16_e32 v56, 0x3bb2, v1
	v_add_f16_e32 v55, v55, v59
	v_fma_f16 v59, v40, s14, v56
	v_add_f16_e32 v59, v59, v62
	v_mul_f16_e32 v62, 0xb461, v43
	v_fma_f16 v56, v40, s14, -v56
	v_add_f16_e32 v57, v57, v70
	v_fma_f16 v70, v41, s1, v62
	v_add_f16_e32 v56, v56, v61
	v_fma_f16 v61, v41, s3, v62
	v_mul_f16_e32 v62, 0x3964, v1
	v_add_f16_e32 v61, v61, v71
	v_fma_f16 v71, v40, s15, v62
	v_add_f16_e32 v64, v71, v64
	v_mul_f16_e32 v71, 0x39e9, v43
	v_fma_f16 v62, v40, s15, -v62
	v_add_f16_e32 v58, v58, v72
	;; [unrolled: 10-line block ×3, first 2 shown]
	v_add_f16_e32 v70, v70, v74
	v_fma_f16 v74, v41, s29, v73
	v_add_f16_e32 v65, v71, v65
	v_fma_f16 v71, v41, s24, v73
	v_mul_f16_e32 v73, 0xbbf7, v1
	v_add_f16_e32 v71, v71, v75
	v_fma_f16 v75, v40, s12, v73
	v_add_f16_e32 v68, v75, v68
	v_mul_f16_e32 v75, 0x2de8, v43
	v_fma_f16 v73, v40, s12, -v73
	v_mul_f16_e32 v1, 0xb836, v1
	v_add_f16_e32 v72, v72, v76
	v_fma_f16 v76, v41, s20, v75
	v_add_f16_e32 v67, v73, v67
	v_fma_f16 v73, v41, s0, v75
	v_fma_f16 v75, v40, s18, v1
	v_mul_f16_e32 v43, 0xbacd, v43
	v_fma_f16 v1, v40, s18, -v1
	v_add_f16_e32 v69, v75, v69
	v_fma_f16 v75, v41, s28, v43
	v_add_f16_e32 v1, v1, v2
	v_fma_f16 v2, v41, s25, v43
	v_add_f16_e32 v41, v60, v42
	v_sub_f16_e32 v42, v60, v42
	v_add_f16_e32 v2, v2, v3
	v_add_f16_e32 v3, v51, v47
	v_mul_f16_e32 v43, 0xbbf7, v42
	v_sub_f16_e32 v40, v51, v47
	v_fma_f16 v47, v3, s12, v43
	v_add_f16_e32 v46, v47, v46
	v_mul_f16_e32 v47, 0x2de8, v41
	v_fma_f16 v43, v3, s12, -v43
	v_add_f16_e32 v43, v43, v44
	v_fma_f16 v44, v40, s0, v47
	v_add_f16_e32 v44, v44, v45
	v_mul_f16_e32 v45, 0xb1e1, v42
	v_fma_f16 v51, v40, s20, v47
	v_fma_f16 v47, v3, s19, v45
	v_add_f16_e32 v47, v47, v50
	v_mul_f16_e32 v50, 0xbbdd, v41
	v_fma_f16 v45, v3, s19, -v45
	v_add_f16_e32 v45, v45, v48
	v_fma_f16 v48, v40, s30, v50
	v_add_f16_e32 v48, v48, v49
	v_mul_f16_e32 v49, 0x3bb2, v42
	v_add_f16_e32 v51, v51, v52
	v_fma_f16 v52, v40, s6, v50
	v_fma_f16 v50, v3, s14, v49
	v_add_f16_e32 v50, v50, v54
	v_mul_f16_e32 v54, 0xb461, v41
	v_fma_f16 v49, v3, s14, -v49
	v_add_f16_e32 v52, v52, v57
	v_fma_f16 v57, v40, s1, v54
	v_add_f16_e32 v49, v49, v53
	v_fma_f16 v53, v40, s3, v54
	v_mul_f16_e32 v54, 0x35c8, v42
	v_add_f16_e32 v57, v57, v58
	v_add_f16_e32 v53, v53, v55
	v_fma_f16 v55, v3, s16, v54
	v_mul_f16_e32 v58, 0x3b76, v41
	v_fma_f16 v54, v3, s16, -v54
	v_add_f16_e32 v55, v55, v59
	v_fma_f16 v59, v40, s24, v58
	v_add_f16_e32 v54, v54, v56
	v_fma_f16 v56, v40, s29, v58
	v_mul_f16_e32 v58, 0xbb29, v42
	v_add_f16_e32 v56, v56, v61
	v_fma_f16 v60, v3, s13, v58
	v_mul_f16_e32 v61, 0x3722, v41
	v_fma_f16 v58, v3, s13, -v58
	v_add_f16_e32 v60, v60, v64
	v_fma_f16 v64, v40, s23, v61
	v_add_f16_e32 v58, v58, v62
	v_fma_f16 v61, v40, s2, v61
	v_mul_f16_e32 v62, 0xb836, v42
	v_add_f16_e32 v61, v61, v63
	v_fma_f16 v63, v3, s18, v62
	v_add_f16_e32 v63, v63, v66
	v_mul_f16_e32 v66, 0xbacd, v41
	v_fma_f16 v62, v3, s18, -v62
	v_add_f16_e32 v59, v59, v70
	v_fma_f16 v70, v40, s28, v66
	v_add_f16_e32 v62, v62, v65
	v_fma_f16 v65, v40, s25, v66
	v_mul_f16_e32 v66, 0x3a62, v42
	v_add_f16_e32 v65, v65, v71
	v_fma_f16 v71, v3, s17, v66
	v_add_f16_e32 v68, v71, v68
	v_mul_f16_e32 v71, 0xb8d2, v41
	v_fma_f16 v66, v3, s17, -v66
	v_mul_f16_e32 v42, 0x3964, v42
	v_add_f16_e32 v64, v64, v72
	v_fma_f16 v72, v40, s22, v71
	v_add_f16_e32 v66, v66, v67
	v_fma_f16 v67, v40, s27, v71
	v_fma_f16 v71, v3, s15, v42
	v_mul_f16_e32 v41, 0x39e9, v41
	v_fma_f16 v3, v3, s15, -v42
	v_add_f16_e32 v1, v3, v1
	v_fma_f16 v3, v40, s26, v41
	v_add_f16_e32 v2, v3, v2
	v_add_f16_e32 v3, v19, v15
	v_sub_f16_e32 v15, v19, v15
	v_add_f16_e32 v19, v20, v14
	v_sub_f16_e32 v14, v20, v14
	v_mul_f16_e32 v20, 0xbbb2, v14
	v_add_f16_e32 v69, v71, v69
	v_fma_f16 v71, v40, s21, v41
	v_fma_f16 v40, v3, s14, v20
	v_mul_f16_e32 v41, 0xb461, v19
	v_fma_f16 v20, v3, s14, -v20
	v_fma_f16 v42, v15, s3, v41
	v_add_f16_e32 v20, v20, v43
	v_fma_f16 v41, v15, s1, v41
	v_mul_f16_e32 v43, 0x3836, v14
	v_add_f16_e32 v40, v40, v46
	v_add_f16_e32 v41, v41, v44
	v_fma_f16 v44, v3, s18, v43
	v_mul_f16_e32 v46, 0xbacd, v19
	v_fma_f16 v43, v3, s18, -v43
	v_add_f16_e32 v44, v44, v47
	v_fma_f16 v47, v15, s25, v46
	v_add_f16_e32 v43, v43, v45
	v_fma_f16 v45, v15, s28, v46
	v_mul_f16_e32 v46, 0x3964, v14
	v_add_f16_e32 v45, v45, v48
	v_fma_f16 v48, v3, s15, v46
	v_add_f16_e32 v48, v48, v50
	v_mul_f16_e32 v50, 0x39e9, v19
	v_fma_f16 v46, v3, s15, -v46
	v_add_f16_e32 v42, v42, v51
	v_fma_f16 v51, v15, s21, v50
	v_add_f16_e32 v46, v46, v49
	v_fma_f16 v49, v15, s26, v50
	v_mul_f16_e32 v50, 0xbb29, v14
	v_add_f16_e32 v47, v47, v52
	v_add_f16_e32 v49, v49, v53
	v_fma_f16 v52, v3, s13, v50
	v_mul_f16_e32 v53, 0x3722, v19
	v_fma_f16 v50, v3, s13, -v50
	v_add_f16_e32 v52, v52, v55
	v_fma_f16 v55, v15, s23, v53
	v_add_f16_e32 v50, v50, v54
	v_fma_f16 v53, v15, s2, v53
	v_mul_f16_e32 v54, 0xb1e1, v14
	v_add_f16_e32 v53, v53, v56
	v_fma_f16 v56, v3, s19, v54
	v_fma_f16 v54, v3, s19, -v54
	v_add_f16_e32 v51, v51, v57
	v_mul_f16_e32 v57, 0xbbdd, v19
	v_add_f16_e32 v54, v54, v58
	v_mul_f16_e32 v58, 0x3bf7, v14
	v_add_f16_e32 v55, v55, v59
	v_add_f16_e32 v56, v56, v60
	v_fma_f16 v59, v15, s6, v57
	v_fma_f16 v57, v15, s30, v57
	;; [unrolled: 1-line block ×3, first 2 shown]
	v_fma_f16 v58, v3, s12, -v58
	v_add_f16_e32 v57, v57, v61
	v_mul_f16_e32 v61, 0x2de8, v19
	v_add_f16_e32 v58, v58, v62
	v_mul_f16_e32 v62, 0xb5c8, v14
	v_add_f16_e32 v77, v77, v83
	v_add_f16_e32 v59, v59, v64
	;; [unrolled: 1-line block ×3, first 2 shown]
	v_fma_f16 v63, v15, s0, v61
	v_fma_f16 v61, v15, s20, v61
	;; [unrolled: 1-line block ×3, first 2 shown]
	v_fma_f16 v62, v3, s16, -v62
	v_mul_f16_e32 v14, 0xba62, v14
	v_add_f16_e32 v73, v73, v77
	v_add_f16_e32 v61, v61, v65
	v_mul_f16_e32 v65, 0x3b76, v19
	v_add_f16_e32 v62, v62, v66
	v_fma_f16 v66, v3, s17, v14
	v_mul_f16_e32 v19, 0xb8d2, v19
	v_fma_f16 v3, v3, s17, -v14
	v_add_f16_e32 v67, v67, v73
	v_add_f16_e32 v64, v64, v68
	v_fma_f16 v68, v15, s29, v65
	v_fma_f16 v65, v15, s24, v65
	v_add_f16_e32 v1, v3, v1
	v_fma_f16 v3, v15, s22, v19
	v_add_f16_e32 v14, v18, v13
	v_sub_f16_e32 v13, v18, v13
	v_add_f16_e32 v65, v65, v67
	v_fma_f16 v67, v15, s27, v19
	v_add_f16_e32 v2, v3, v2
	v_add_f16_e32 v3, v17, v12
	v_mul_f16_e32 v15, 0xba62, v13
	v_sub_f16_e32 v12, v17, v12
	v_fma_f16 v17, v3, s17, v15
	v_fma_f16 v15, v3, s17, -v15
	v_mul_f16_e32 v18, 0xb8d2, v14
	v_add_f16_e32 v15, v15, v20
	v_mul_f16_e32 v20, 0x3bb2, v13
	v_add_f16_e32 v17, v17, v40
	v_fma_f16 v19, v12, s27, v18
	v_fma_f16 v18, v12, s22, v18
	v_fma_f16 v40, v3, s14, v20
	v_fma_f16 v20, v3, s14, -v20
	v_add_f16_e32 v18, v18, v41
	v_mul_f16_e32 v41, 0xb461, v14
	v_add_f16_e32 v20, v20, v43
	v_mul_f16_e32 v43, 0xb5c8, v13
	v_add_f16_e32 v19, v19, v42
	v_add_f16_e32 v40, v40, v44
	v_fma_f16 v42, v12, s1, v41
	v_fma_f16 v41, v12, s3, v41
	v_fma_f16 v44, v3, s16, v43
	v_fma_f16 v43, v3, s16, -v43
	v_add_f16_e32 v41, v41, v45
	v_mul_f16_e32 v45, 0x3b76, v14
	v_add_f16_e32 v43, v43, v46
	v_mul_f16_e32 v46, 0xb836, v13
	v_add_f16_e32 v42, v42, v47
	;; [unrolled: 10-line block ×5, first 2 shown]
	v_add_f16_e32 v56, v56, v60
	v_fma_f16 v59, v12, s26, v57
	v_fma_f16 v57, v12, s21, v57
	;; [unrolled: 1-line block ×3, first 2 shown]
	v_fma_f16 v58, v3, s19, -v58
	v_mul_f16_e32 v13, 0x3b29, v13
	v_add_f16_e32 v57, v57, v61
	v_mul_f16_e32 v61, 0xbbdd, v14
	v_add_f16_e32 v58, v58, v62
	v_fma_f16 v62, v3, s13, v13
	v_mul_f16_e32 v14, 0x3722, v14
	v_fma_f16 v3, v3, s13, -v13
	v_add_f16_e32 v74, v74, v78
	v_add_f16_e32 v1, v3, v1
	v_fma_f16 v3, v12, s23, v14
	v_add_f16_e32 v70, v70, v74
	v_add_f16_e32 v2, v3, v2
	;; [unrolled: 1-line block ×3, first 2 shown]
	v_sub_f16_e32 v8, v8, v10
	v_add_f16_e32 v10, v9, v11
	v_sub_f16_e32 v9, v9, v11
	v_add_f16_e32 v63, v63, v70
	v_mul_f16_e32 v11, 0xb836, v9
	v_add_f16_e32 v59, v59, v63
	v_add_f16_e32 v60, v60, v64
	v_fma_f16 v63, v12, s6, v61
	v_fma_f16 v61, v12, s30, v61
	;; [unrolled: 1-line block ×4, first 2 shown]
	v_fma_f16 v11, v3, s18, -v11
	v_mul_f16_e32 v13, 0xbacd, v10
	v_add_f16_e32 v11, v11, v15
	v_mul_f16_e32 v15, 0x3b29, v9
	v_add_f16_e32 v12, v12, v17
	v_fma_f16 v14, v8, s28, v13
	v_fma_f16 v13, v8, s25, v13
	v_fma_f16 v17, v3, s13, v15
	v_fma_f16 v15, v3, s13, -v15
	v_add_f16_e32 v13, v13, v18
	v_mul_f16_e32 v18, 0x3722, v10
	v_add_f16_e32 v15, v15, v20
	v_mul_f16_e32 v20, 0xbbf7, v9
	v_add_f16_e32 v14, v14, v19
	v_add_f16_e32 v17, v17, v40
	v_fma_f16 v19, v8, s2, v18
	v_fma_f16 v18, v8, s23, v18
	v_fma_f16 v40, v3, s12, v20
	v_fma_f16 v20, v3, s12, -v20
	v_add_f16_e32 v18, v18, v41
	v_mul_f16_e32 v41, 0x2de8, v10
	v_add_f16_e32 v20, v20, v43
	v_mul_f16_e32 v43, 0x3a62, v9
	v_add_f16_e32 v19, v19, v42
	;; [unrolled: 10-line block ×5, first 2 shown]
	v_add_f16_e32 v52, v52, v56
	v_fma_f16 v55, v8, s6, v53
	v_fma_f16 v53, v8, s30, v53
	;; [unrolled: 1-line block ×3, first 2 shown]
	v_fma_f16 v54, v3, s15, -v54
	v_mul_f16_e32 v9, 0xbbb2, v9
	v_add_f16_e32 v53, v53, v57
	v_mul_f16_e32 v57, 0x39e9, v10
	v_add_f16_e32 v54, v54, v58
	v_fma_f16 v58, v3, s14, v9
	v_mul_f16_e32 v10, 0xb461, v10
	v_fma_f16 v3, v3, s14, -v9
	v_add_f16_e32 v55, v55, v59
	v_add_f16_e32 v56, v56, v60
	v_fma_f16 v59, v8, s21, v57
	v_fma_f16 v57, v8, s26, v57
	;; [unrolled: 1-line block ×3, first 2 shown]
	v_add_f16_e32 v1, v3, v1
	v_fma_f16 v3, v8, s1, v10
	v_add_f16_e32 v8, v4, v7
	v_sub_f16_e32 v4, v4, v7
	v_add_f16_e32 v2, v3, v2
	v_add_f16_e32 v3, v5, v6
	v_sub_f16_e32 v5, v5, v6
	v_mul_f16_e32 v6, 0xb1e1, v4
	v_fma_f16 v7, v3, s19, v6
	v_fma_f16 v6, v3, s19, -v6
	v_mul_f16_e32 v9, 0xbbdd, v8
	v_add_f16_e32 v6, v6, v11
	v_mul_f16_e32 v11, 0x35c8, v4
	v_add_f16_e32 v7, v7, v12
	v_fma_f16 v10, v5, s6, v9
	v_fma_f16 v9, v5, s30, v9
	v_fma_f16 v12, v3, s16, v11
	v_fma_f16 v11, v3, s16, -v11
	v_add_f16_e32 v9, v9, v13
	v_mul_f16_e32 v13, 0x3b76, v8
	v_add_f16_e32 v11, v11, v15
	v_mul_f16_e32 v15, 0xb836, v4
	v_add_f16_e32 v10, v10, v14
	v_add_f16_e32 v12, v12, v17
	v_fma_f16 v14, v5, s24, v13
	v_fma_f16 v13, v5, s29, v13
	v_fma_f16 v17, v3, s18, v15
	v_fma_f16 v15, v3, s18, -v15
	v_add_f16_e32 v13, v13, v18
	v_mul_f16_e32 v18, 0xbacd, v8
	v_add_f16_e32 v15, v15, v20
	v_mul_f16_e32 v20, 0x3964, v4
	v_add_f16_e32 v14, v14, v19
	;; [unrolled: 10-line block ×4, first 2 shown]
	v_add_f16_e32 v44, v44, v48
	v_fma_f16 v47, v5, s27, v45
	v_fma_f16 v45, v5, s22, v45
	;; [unrolled: 1-line block ×3, first 2 shown]
	v_fma_f16 v46, v3, s13, -v46
	v_add_f16_e32 v80, v80, v82
	v_add_f16_e32 v45, v45, v49
	v_mul_f16_e32 v49, 0x3722, v8
	v_add_f16_e32 v46, v46, v50
	v_mul_f16_e32 v50, 0xbbb2, v4
	v_add_f16_e32 v79, v79, v84
	v_add_f16_e32 v76, v76, v80
	;; [unrolled: 1-line block ×4, first 2 shown]
	v_fma_f16 v51, v5, s2, v49
	v_fma_f16 v49, v5, s23, v49
	v_fma_f16 v52, v3, s14, v50
	v_fma_f16 v50, v3, s14, -v50
	v_mul_f16_e32 v4, 0x3bf7, v4
	v_add_f16_e32 v75, v75, v79
	v_add_f16_e32 v72, v72, v76
	;; [unrolled: 1-line block ×3, first 2 shown]
	v_mul_f16_e32 v53, 0xb461, v8
	v_add_f16_e32 v50, v50, v54
	v_fma_f16 v54, v3, s12, v4
	v_mul_f16_e32 v8, 0x2de8, v8
	v_fma_f16 v3, v3, s12, -v4
	v_add_f16_e32 v71, v71, v75
	v_add_f16_e32 v68, v68, v72
	;; [unrolled: 1-line block ×3, first 2 shown]
	v_fma_f16 v3, v5, s20, v8
	v_add_f16_e32 v66, v66, v69
	v_add_f16_e32 v67, v67, v71
	;; [unrolled: 1-line block ×4, first 2 shown]
	v_pack_b32_f16 v3, v7, v10
	v_add_f16_e32 v62, v62, v66
	v_add_f16_e32 v64, v64, v67
	;; [unrolled: 1-line block ×4, first 2 shown]
	v_fma_f16 v55, v5, s3, v53
	ds_write2_b32 v21, v0, v3 offset1:17
	v_pack_b32_f16 v0, v12, v14
	v_pack_b32_f16 v3, v17, v19
	v_add_f16_e32 v61, v61, v65
	v_add_f16_e32 v58, v58, v62
	;; [unrolled: 1-line block ×5, first 2 shown]
	v_fma_f16 v56, v5, s0, v8
	ds_write2_b32 v21, v0, v3 offset0:34 offset1:51
	v_pack_b32_f16 v0, v40, v42
	v_pack_b32_f16 v3, v44, v47
	v_add_f16_e32 v57, v57, v61
	v_fma_f16 v53, v5, s1, v53
	v_add_f16_e32 v54, v54, v58
	v_add_f16_e32 v56, v56, v60
	ds_write2_b32 v21, v0, v3 offset0:68 offset1:85
	v_pack_b32_f16 v0, v48, v51
	v_pack_b32_f16 v3, v52, v55
	v_add_f16_e32 v53, v53, v57
	ds_write2_b32 v21, v0, v3 offset0:102 offset1:119
	v_pack_b32_f16 v0, v54, v56
	v_pack_b32_f16 v1, v1, v2
	ds_write2_b32 v21, v0, v1 offset0:136 offset1:153
	v_pack_b32_f16 v0, v50, v53
	v_pack_b32_f16 v1, v46, v49
	;; [unrolled: 3-line block ×4, first 2 shown]
	ds_write2_b32 v21, v0, v1 offset0:238 offset1:255
	v_pack_b32_f16 v0, v6, v9
	ds_write_b32 v21, v0 offset:1088
	s_waitcnt lgkmcnt(0)
	s_barrier
	ds_read2_b32 v[0:1], v21 offset1:17
	s_mov_b32 s2, 0xd10d4986
	s_mov_b32 s3, 0x3f6c5894
	s_movk_i32 s6, 0x1ff
	s_movk_i32 s7, 0xffe
	s_waitcnt lgkmcnt(0)
	v_lshrrev_b32_e32 v8, 16, v0
	v_mul_f16_sdwa v2, v39, v8 dst_sel:DWORD dst_unused:UNUSED_PAD src0_sel:WORD_1 src1_sel:DWORD
	v_fma_f16 v2, v39, v0, v2
	v_cvt_f32_f16_e32 v4, v2
	v_mad_u64_u32 v[2:3], s[0:1], s10, v16, 0
	v_mul_f16_sdwa v0, v39, v0 dst_sel:DWORD dst_unused:UNUSED_PAD src0_sel:WORD_1 src1_sel:DWORD
	v_cvt_f64_f32_e32 v[4:5], v4
	v_fma_f16 v0, v39, v8, -v0
	s_movk_i32 s10, 0x40f
	v_mul_f64 v[4:5], v[4:5], s[2:3]
	v_mad_u64_u32 v[6:7], s[0:1], s11, v16, v[3:4]
	v_and_or_b32 v4, v5, s6, v4
	v_cmp_ne_u32_e32 vcc, 0, v4
	v_mov_b32_e32 v3, v6
	v_cndmask_b32_e64 v4, 0, 1, vcc
	v_lshrrev_b32_e32 v6, 8, v5
	v_bfe_u32 v7, v5, 20, 11
	v_and_or_b32 v4, v6, s7, v4
	v_sub_u32_e32 v9, 0x3f1, v7
	v_or_b32_e32 v6, 0x1000, v4
	v_med3_i32 v9, v9, 0, 13
	v_lshrrev_b32_e32 v10, v9, v6
	v_lshlrev_b32_e32 v9, v9, v10
	v_cmp_ne_u32_e32 vcc, v9, v6
	v_cndmask_b32_e64 v6, 0, 1, vcc
	v_add_u32_e32 v9, 0xfffffc10, v7
	v_or_b32_e32 v6, v10, v6
	v_lshl_or_b32 v7, v9, 12, v4
	v_cmp_gt_i32_e32 vcc, 1, v9
	v_cndmask_b32_e32 v6, v7, v6, vcc
	v_and_b32_e32 v7, 7, v6
	v_cmp_lt_i32_e32 vcc, 5, v7
	v_cmp_eq_u32_e64 s[0:1], 3, v7
	v_cvt_f32_f16_e32 v7, v0
	v_lshrrev_b32_e32 v6, 2, v6
	s_or_b64 vcc, s[0:1], vcc
	v_addc_co_u32_e32 v8, vcc, 0, v6, vcc
	v_cvt_f64_f32_e32 v[6:7], v7
	v_mov_b32_e32 v0, 0x7c00
	v_cmp_gt_i32_e32 vcc, 31, v9
	v_cndmask_b32_e32 v8, v0, v8, vcc
	v_mul_f64 v[6:7], v[6:7], s[2:3]
	v_cmp_ne_u32_e32 vcc, 0, v4
	v_cndmask_b32_e64 v4, 0, 1, vcc
	v_lshl_or_b32 v4, v4, 9, v0
	v_cmp_eq_u32_e32 vcc, s10, v9
	v_cndmask_b32_e32 v4, v8, v4, vcc
	v_lshrrev_b32_e32 v5, 16, v5
	s_mov_b32 s11, 0x8000
	v_and_or_b32 v8, v5, s11, v4
	v_and_or_b32 v4, v7, s6, v6
	v_cmp_ne_u32_e32 vcc, 0, v4
	v_cndmask_b32_e64 v4, 0, 1, vcc
	v_lshrrev_b32_e32 v5, 8, v7
	v_bfe_u32 v6, v7, 20, 11
	v_and_or_b32 v4, v5, s7, v4
	v_sub_u32_e32 v9, 0x3f1, v6
	v_or_b32_e32 v5, 0x1000, v4
	v_med3_i32 v9, v9, 0, 13
	v_lshrrev_b32_e32 v10, v9, v5
	v_lshlrev_b32_e32 v9, v9, v10
	v_cmp_ne_u32_e32 vcc, v9, v5
	v_cndmask_b32_e64 v5, 0, 1, vcc
	v_add_u32_e32 v6, 0xfffffc10, v6
	v_or_b32_e32 v5, v10, v5
	v_lshl_or_b32 v9, v6, 12, v4
	v_cmp_gt_i32_e32 vcc, 1, v6
	v_cndmask_b32_e32 v5, v9, v5, vcc
	v_and_b32_e32 v9, 7, v5
	v_cmp_lt_i32_e32 vcc, 5, v9
	v_cmp_eq_u32_e64 s[0:1], 3, v9
	v_lshrrev_b32_e32 v5, 2, v5
	s_or_b64 vcc, s[0:1], vcc
	v_addc_co_u32_e32 v5, vcc, 0, v5, vcc
	v_cmp_gt_i32_e32 vcc, 31, v6
	v_cndmask_b32_e32 v9, v0, v5, vcc
	v_cmp_ne_u32_e32 vcc, 0, v4
	v_cndmask_b32_e64 v4, 0, 1, vcc
	v_lshl_or_b32 v10, v4, 9, v0
	v_mad_u64_u32 v[4:5], s[0:1], s8, v38, 0
	v_cmp_eq_u32_e32 vcc, s10, v6
	v_cndmask_b32_e32 v9, v9, v10, vcc
	v_mad_u64_u32 v[5:6], s[0:1], s9, v38, v[5:6]
	v_lshrrev_b32_e32 v10, 16, v1
	v_mul_f16_sdwa v6, v37, v10 dst_sel:DWORD dst_unused:UNUSED_PAD src0_sel:WORD_1 src1_sel:DWORD
	v_fma_f16 v6, v37, v1, v6
	v_cvt_f32_f16_e32 v6, v6
	v_lshrrev_b32_e32 v7, 16, v7
	v_and_or_b32 v9, v7, s11, v9
	v_lshlrev_b64 v[2:3], 2, v[2:3]
	v_cvt_f64_f32_e32 v[6:7], v6
	v_and_b32_e32 v8, 0xffff, v8
	v_lshl_or_b32 v8, v9, 16, v8
	v_mov_b32_e32 v9, s5
	v_mul_f64 v[6:7], v[6:7], s[2:3]
	v_add_co_u32_e32 v11, vcc, s4, v2
	v_addc_co_u32_e32 v9, vcc, v9, v3, vcc
	v_lshlrev_b64 v[2:3], 2, v[4:5]
	v_mul_f16_sdwa v1, v37, v1 dst_sel:DWORD dst_unused:UNUSED_PAD src0_sel:WORD_1 src1_sel:DWORD
	v_add_co_u32_e32 v2, vcc, v11, v2
	v_addc_co_u32_e32 v3, vcc, v9, v3, vcc
	v_and_or_b32 v4, v7, s6, v6
	v_cmp_ne_u32_e32 vcc, 0, v4
	v_cndmask_b32_e64 v4, 0, 1, vcc
	v_lshrrev_b32_e32 v5, 8, v7
	v_and_or_b32 v6, v5, s7, v4
	v_bfe_u32 v5, v7, 20, 11
	global_store_dword v[2:3], v8, off
	v_sub_u32_e32 v8, 0x3f1, v5
	v_or_b32_e32 v4, 0x1000, v6
	v_med3_i32 v8, v8, 0, 13
	v_lshrrev_b32_e32 v9, v8, v4
	v_lshlrev_b32_e32 v8, v8, v9
	v_cmp_ne_u32_e32 vcc, v8, v4
	v_fma_f16 v1, v37, v10, -v1
	v_cndmask_b32_e64 v4, 0, 1, vcc
	v_add_u32_e32 v8, 0xfffffc10, v5
	v_cvt_f32_f16_e32 v1, v1
	v_or_b32_e32 v4, v9, v4
	v_lshl_or_b32 v5, v8, 12, v6
	v_cmp_gt_i32_e32 vcc, 1, v8
	v_cndmask_b32_e32 v4, v5, v4, vcc
	v_and_b32_e32 v5, 7, v4
	v_cmp_lt_i32_e32 vcc, 5, v5
	v_cmp_eq_u32_e64 s[0:1], 3, v5
	v_lshrrev_b32_e32 v9, 2, v4
	v_cvt_f64_f32_e32 v[4:5], v1
	s_or_b64 vcc, s[0:1], vcc
	v_addc_co_u32_e32 v1, vcc, 0, v9, vcc
	v_mul_f64 v[4:5], v[4:5], s[2:3]
	v_cmp_gt_i32_e32 vcc, 31, v8
	v_cndmask_b32_e32 v1, v0, v1, vcc
	v_cmp_ne_u32_e32 vcc, 0, v6
	v_cndmask_b32_e64 v6, 0, 1, vcc
	v_lshl_or_b32 v6, v6, 9, v0
	v_cmp_eq_u32_e32 vcc, s10, v8
	v_cndmask_b32_e32 v1, v1, v6, vcc
	v_and_or_b32 v4, v5, s6, v4
	v_lshrrev_b32_e32 v6, 16, v7
	v_cmp_ne_u32_e32 vcc, 0, v4
	v_and_or_b32 v1, v6, s11, v1
	v_cndmask_b32_e64 v4, 0, 1, vcc
	v_lshrrev_b32_e32 v6, 8, v5
	v_bfe_u32 v7, v5, 20, 11
	v_and_or_b32 v4, v6, s7, v4
	v_sub_u32_e32 v8, 0x3f1, v7
	v_or_b32_e32 v6, 0x1000, v4
	v_med3_i32 v8, v8, 0, 13
	v_lshrrev_b32_e32 v9, v8, v6
	v_lshlrev_b32_e32 v8, v8, v9
	v_cmp_ne_u32_e32 vcc, v8, v6
	v_cndmask_b32_e64 v6, 0, 1, vcc
	v_add_u32_e32 v8, 0xfffffc10, v7
	v_or_b32_e32 v6, v9, v6
	v_lshl_or_b32 v7, v8, 12, v4
	v_cmp_gt_i32_e32 vcc, 1, v8
	v_cndmask_b32_e32 v6, v7, v6, vcc
	v_and_b32_e32 v7, 7, v6
	v_cmp_lt_i32_e32 vcc, 5, v7
	v_cmp_eq_u32_e64 s[0:1], 3, v7
	v_lshrrev_b32_e32 v6, 2, v6
	s_or_b64 vcc, s[0:1], vcc
	v_addc_co_u32_e32 v6, vcc, 0, v6, vcc
	v_cmp_gt_i32_e32 vcc, 31, v8
	v_cndmask_b32_e32 v9, v0, v6, vcc
	ds_read2_b32 v[6:7], v21 offset0:34 offset1:51
	v_cmp_ne_u32_e32 vcc, 0, v4
	v_cndmask_b32_e64 v4, 0, 1, vcc
	v_lshl_or_b32 v4, v4, 9, v0
	v_cmp_eq_u32_e32 vcc, s10, v8
	s_waitcnt lgkmcnt(0)
	v_lshrrev_b32_e32 v8, 16, v6
	v_cndmask_b32_e32 v4, v9, v4, vcc
	v_mul_f16_sdwa v9, v36, v8 dst_sel:DWORD dst_unused:UNUSED_PAD src0_sel:WORD_1 src1_sel:DWORD
	v_fma_f16 v9, v36, v6, v9
	v_cvt_f32_f16_e32 v9, v9
	v_lshrrev_b32_e32 v5, 16, v5
	v_and_or_b32 v4, v5, s11, v4
	v_and_b32_e32 v1, 0xffff, v1
	v_lshl_or_b32 v10, v4, 16, v1
	v_cvt_f64_f32_e32 v[4:5], v9
	s_mul_i32 s0, s9, 0x44
	s_mul_hi_u32 s4, s8, 0x44
	s_add_i32 s4, s4, s0
	v_mul_f64 v[4:5], v[4:5], s[2:3]
	s_mul_i32 s5, s8, 0x44
	v_mov_b32_e32 v9, s4
	v_add_co_u32_e32 v1, vcc, s5, v2
	v_addc_co_u32_e32 v2, vcc, v3, v9, vcc
	global_store_dword v[1:2], v10, off
	v_and_or_b32 v3, v5, s6, v4
	v_cmp_ne_u32_e32 vcc, 0, v3
	v_cndmask_b32_e64 v3, 0, 1, vcc
	v_lshrrev_b32_e32 v4, 8, v5
	v_and_or_b32 v9, v4, s7, v3
	v_bfe_u32 v4, v5, 20, 11
	v_sub_u32_e32 v10, 0x3f1, v4
	v_or_b32_e32 v3, 0x1000, v9
	v_med3_i32 v10, v10, 0, 13
	v_lshrrev_b32_e32 v11, v10, v3
	v_lshlrev_b32_e32 v10, v10, v11
	v_mul_f16_sdwa v6, v36, v6 dst_sel:DWORD dst_unused:UNUSED_PAD src0_sel:WORD_1 src1_sel:DWORD
	v_cmp_ne_u32_e32 vcc, v10, v3
	v_fma_f16 v6, v36, v8, -v6
	v_cndmask_b32_e64 v3, 0, 1, vcc
	v_add_u32_e32 v10, 0xfffffc10, v4
	v_cvt_f32_f16_e32 v6, v6
	v_or_b32_e32 v3, v11, v3
	v_lshl_or_b32 v4, v10, 12, v9
	v_cmp_gt_i32_e32 vcc, 1, v10
	v_cndmask_b32_e32 v3, v4, v3, vcc
	v_and_b32_e32 v4, 7, v3
	v_cmp_lt_i32_e32 vcc, 5, v4
	v_cmp_eq_u32_e64 s[0:1], 3, v4
	v_lshrrev_b32_e32 v8, 2, v3
	v_cvt_f64_f32_e32 v[3:4], v6
	s_or_b64 vcc, s[0:1], vcc
	v_addc_co_u32_e32 v6, vcc, 0, v8, vcc
	v_mul_f64 v[3:4], v[3:4], s[2:3]
	v_cmp_gt_i32_e32 vcc, 31, v10
	v_cndmask_b32_e32 v6, v0, v6, vcc
	v_cmp_ne_u32_e32 vcc, 0, v9
	v_cndmask_b32_e64 v8, 0, 1, vcc
	v_lshl_or_b32 v8, v8, 9, v0
	v_cmp_eq_u32_e32 vcc, s10, v10
	v_cndmask_b32_e32 v6, v6, v8, vcc
	v_and_or_b32 v3, v4, s6, v3
	v_lshrrev_b32_e32 v5, 16, v5
	v_cmp_ne_u32_e32 vcc, 0, v3
	v_and_or_b32 v8, v5, s11, v6
	v_cndmask_b32_e64 v3, 0, 1, vcc
	v_lshrrev_b32_e32 v5, 8, v4
	v_bfe_u32 v6, v4, 20, 11
	v_and_or_b32 v3, v5, s7, v3
	v_sub_u32_e32 v9, 0x3f1, v6
	v_or_b32_e32 v5, 0x1000, v3
	v_med3_i32 v9, v9, 0, 13
	v_lshrrev_b32_e32 v10, v9, v5
	v_lshlrev_b32_e32 v9, v9, v10
	v_cmp_ne_u32_e32 vcc, v9, v5
	v_cndmask_b32_e64 v5, 0, 1, vcc
	v_add_u32_e32 v6, 0xfffffc10, v6
	v_or_b32_e32 v5, v10, v5
	v_lshl_or_b32 v9, v6, 12, v3
	v_cmp_gt_i32_e32 vcc, 1, v6
	v_cndmask_b32_e32 v5, v9, v5, vcc
	v_and_b32_e32 v9, 7, v5
	v_cmp_lt_i32_e32 vcc, 5, v9
	v_cmp_eq_u32_e64 s[0:1], 3, v9
	v_lshrrev_b32_e32 v9, 16, v7
	v_lshrrev_b32_e32 v5, 2, v5
	s_or_b64 vcc, s[0:1], vcc
	v_mul_f16_sdwa v10, v35, v9 dst_sel:DWORD dst_unused:UNUSED_PAD src0_sel:WORD_1 src1_sel:DWORD
	v_addc_co_u32_e32 v5, vcc, 0, v5, vcc
	v_fma_f16 v10, v35, v7, v10
	v_cmp_gt_i32_e32 vcc, 31, v6
	v_cvt_f32_f16_e32 v10, v10
	v_cndmask_b32_e32 v5, v0, v5, vcc
	v_cmp_ne_u32_e32 vcc, 0, v3
	v_cndmask_b32_e64 v3, 0, 1, vcc
	v_lshl_or_b32 v3, v3, 9, v0
	v_cmp_eq_u32_e32 vcc, s10, v6
	v_cndmask_b32_e32 v3, v5, v3, vcc
	v_cvt_f64_f32_e32 v[5:6], v10
	v_lshrrev_b32_e32 v4, 16, v4
	v_and_or_b32 v10, v4, s11, v3
	v_add_co_u32_e32 v1, vcc, s5, v1
	v_mul_f64 v[3:4], v[5:6], s[2:3]
	v_mov_b32_e32 v6, s4
	v_and_b32_e32 v8, 0xffff, v8
	v_addc_co_u32_e32 v2, vcc, v2, v6, vcc
	v_lshl_or_b32 v5, v10, 16, v8
	global_store_dword v[1:2], v5, off
	v_mul_f16_sdwa v7, v35, v7 dst_sel:DWORD dst_unused:UNUSED_PAD src0_sel:WORD_1 src1_sel:DWORD
	v_and_or_b32 v3, v4, s6, v3
	v_cmp_ne_u32_e32 vcc, 0, v3
	v_cndmask_b32_e64 v3, 0, 1, vcc
	v_lshrrev_b32_e32 v5, 8, v4
	v_bfe_u32 v6, v4, 20, 11
	v_and_or_b32 v3, v5, s7, v3
	v_sub_u32_e32 v8, 0x3f1, v6
	v_or_b32_e32 v5, 0x1000, v3
	v_med3_i32 v8, v8, 0, 13
	v_lshrrev_b32_e32 v10, v8, v5
	v_lshlrev_b32_e32 v8, v8, v10
	v_cmp_ne_u32_e32 vcc, v8, v5
	v_fma_f16 v7, v35, v9, -v7
	v_cndmask_b32_e64 v5, 0, 1, vcc
	v_add_u32_e32 v8, 0xfffffc10, v6
	v_cvt_f32_f16_e32 v7, v7
	v_or_b32_e32 v5, v10, v5
	v_lshl_or_b32 v6, v8, 12, v3
	v_cmp_gt_i32_e32 vcc, 1, v8
	v_cndmask_b32_e32 v5, v6, v5, vcc
	v_and_b32_e32 v6, 7, v5
	v_cmp_lt_i32_e32 vcc, 5, v6
	v_cmp_eq_u32_e64 s[0:1], 3, v6
	v_lshrrev_b32_e32 v9, 2, v5
	v_cvt_f64_f32_e32 v[5:6], v7
	s_or_b64 vcc, s[0:1], vcc
	v_addc_co_u32_e32 v7, vcc, 0, v9, vcc
	v_mul_f64 v[5:6], v[5:6], s[2:3]
	v_cmp_gt_i32_e32 vcc, 31, v8
	v_cndmask_b32_e32 v7, v0, v7, vcc
	v_cmp_ne_u32_e32 vcc, 0, v3
	v_cndmask_b32_e64 v3, 0, 1, vcc
	v_lshl_or_b32 v3, v3, 9, v0
	v_cmp_eq_u32_e32 vcc, s10, v8
	v_cndmask_b32_e32 v3, v7, v3, vcc
	v_lshrrev_b32_e32 v4, 16, v4
	v_and_or_b32 v9, v4, s11, v3
	v_and_or_b32 v3, v6, s6, v5
	v_cmp_ne_u32_e32 vcc, 0, v3
	v_cndmask_b32_e64 v3, 0, 1, vcc
	v_lshrrev_b32_e32 v4, 8, v6
	v_and_or_b32 v5, v4, s7, v3
	v_bfe_u32 v4, v6, 20, 11
	v_sub_u32_e32 v7, 0x3f1, v4
	v_or_b32_e32 v3, 0x1000, v5
	v_med3_i32 v7, v7, 0, 13
	v_lshrrev_b32_e32 v8, v7, v3
	v_lshlrev_b32_e32 v7, v7, v8
	v_cmp_ne_u32_e32 vcc, v7, v3
	v_cndmask_b32_e64 v3, 0, 1, vcc
	v_add_u32_e32 v7, 0xfffffc10, v4
	v_or_b32_e32 v3, v8, v3
	v_lshl_or_b32 v4, v7, 12, v5
	v_cmp_gt_i32_e32 vcc, 1, v7
	v_cndmask_b32_e32 v3, v4, v3, vcc
	v_and_b32_e32 v4, 7, v3
	v_cmp_lt_i32_e32 vcc, 5, v4
	v_cmp_eq_u32_e64 s[0:1], 3, v4
	v_lshrrev_b32_e32 v3, 2, v3
	s_or_b64 vcc, s[0:1], vcc
	v_addc_co_u32_e32 v8, vcc, 0, v3, vcc
	ds_read2_b32 v[3:4], v21 offset0:68 offset1:85
	v_cmp_gt_i32_e32 vcc, 31, v7
	v_cndmask_b32_e32 v8, v0, v8, vcc
	v_cmp_ne_u32_e32 vcc, 0, v5
	v_cndmask_b32_e64 v5, 0, 1, vcc
	s_waitcnt lgkmcnt(0)
	v_lshrrev_b32_e32 v10, 16, v3
	v_mul_f16_sdwa v11, v34, v10 dst_sel:DWORD dst_unused:UNUSED_PAD src0_sel:WORD_1 src1_sel:DWORD
	v_fma_f16 v11, v34, v3, v11
	v_cvt_f32_f16_e32 v11, v11
	v_lshl_or_b32 v5, v5, 9, v0
	v_cmp_eq_u32_e32 vcc, s10, v7
	v_cndmask_b32_e32 v5, v8, v5, vcc
	v_cvt_f64_f32_e32 v[7:8], v11
	v_lshrrev_b32_e32 v6, 16, v6
	v_and_or_b32 v11, v6, s11, v5
	v_add_co_u32_e32 v1, vcc, s5, v1
	v_mul_f64 v[5:6], v[7:8], s[2:3]
	v_mov_b32_e32 v8, s4
	v_and_b32_e32 v9, 0xffff, v9
	v_addc_co_u32_e32 v2, vcc, v2, v8, vcc
	v_lshl_or_b32 v7, v11, 16, v9
	global_store_dword v[1:2], v7, off
	v_mul_f16_sdwa v3, v34, v3 dst_sel:DWORD dst_unused:UNUSED_PAD src0_sel:WORD_1 src1_sel:DWORD
	v_and_or_b32 v5, v6, s6, v5
	v_cmp_ne_u32_e32 vcc, 0, v5
	v_cndmask_b32_e64 v5, 0, 1, vcc
	v_lshrrev_b32_e32 v7, 8, v6
	v_bfe_u32 v8, v6, 20, 11
	v_and_or_b32 v5, v7, s7, v5
	v_sub_u32_e32 v9, 0x3f1, v8
	v_or_b32_e32 v7, 0x1000, v5
	v_med3_i32 v9, v9, 0, 13
	v_lshrrev_b32_e32 v11, v9, v7
	v_lshlrev_b32_e32 v9, v9, v11
	v_cmp_ne_u32_e32 vcc, v9, v7
	v_fma_f16 v3, v34, v10, -v3
	v_cndmask_b32_e64 v7, 0, 1, vcc
	v_add_u32_e32 v9, 0xfffffc10, v8
	v_cvt_f32_f16_e32 v3, v3
	v_or_b32_e32 v7, v11, v7
	v_lshl_or_b32 v8, v9, 12, v5
	v_cmp_gt_i32_e32 vcc, 1, v9
	v_cndmask_b32_e32 v7, v8, v7, vcc
	v_and_b32_e32 v8, 7, v7
	v_cmp_lt_i32_e32 vcc, 5, v8
	v_cmp_eq_u32_e64 s[0:1], 3, v8
	v_lshrrev_b32_e32 v10, 2, v7
	v_cvt_f64_f32_e32 v[7:8], v3
	s_or_b64 vcc, s[0:1], vcc
	v_addc_co_u32_e32 v3, vcc, 0, v10, vcc
	v_mul_f64 v[7:8], v[7:8], s[2:3]
	v_cmp_gt_i32_e32 vcc, 31, v9
	v_cndmask_b32_e32 v3, v0, v3, vcc
	v_cmp_ne_u32_e32 vcc, 0, v5
	v_cndmask_b32_e64 v5, 0, 1, vcc
	v_lshl_or_b32 v5, v5, 9, v0
	v_cmp_eq_u32_e32 vcc, s10, v9
	v_cndmask_b32_e32 v3, v3, v5, vcc
	v_lshrrev_b32_e32 v5, 16, v6
	v_and_or_b32 v3, v5, s11, v3
	v_and_or_b32 v5, v8, s6, v7
	v_cmp_ne_u32_e32 vcc, 0, v5
	v_cndmask_b32_e64 v5, 0, 1, vcc
	v_lshrrev_b32_e32 v6, 8, v8
	v_bfe_u32 v7, v8, 20, 11
	v_and_or_b32 v5, v6, s7, v5
	v_sub_u32_e32 v9, 0x3f1, v7
	v_or_b32_e32 v6, 0x1000, v5
	v_med3_i32 v9, v9, 0, 13
	v_lshrrev_b32_e32 v10, v9, v6
	v_lshlrev_b32_e32 v9, v9, v10
	v_cmp_ne_u32_e32 vcc, v9, v6
	v_cndmask_b32_e64 v6, 0, 1, vcc
	v_add_u32_e32 v7, 0xfffffc10, v7
	v_or_b32_e32 v6, v10, v6
	v_lshl_or_b32 v9, v7, 12, v5
	v_cmp_gt_i32_e32 vcc, 1, v7
	v_cndmask_b32_e32 v6, v9, v6, vcc
	v_and_b32_e32 v9, 7, v6
	v_cmp_lt_i32_e32 vcc, 5, v9
	v_cmp_eq_u32_e64 s[0:1], 3, v9
	v_lshrrev_b32_e32 v9, 16, v4
	v_lshrrev_b32_e32 v6, 2, v6
	s_or_b64 vcc, s[0:1], vcc
	v_mul_f16_sdwa v10, v33, v9 dst_sel:DWORD dst_unused:UNUSED_PAD src0_sel:WORD_1 src1_sel:DWORD
	v_addc_co_u32_e32 v6, vcc, 0, v6, vcc
	v_fma_f16 v10, v33, v4, v10
	v_cmp_gt_i32_e32 vcc, 31, v7
	v_cvt_f32_f16_e32 v10, v10
	v_cndmask_b32_e32 v6, v0, v6, vcc
	v_cmp_ne_u32_e32 vcc, 0, v5
	v_cndmask_b32_e64 v5, 0, 1, vcc
	v_lshl_or_b32 v5, v5, 9, v0
	v_cmp_eq_u32_e32 vcc, s10, v7
	v_cndmask_b32_e32 v7, v6, v5, vcc
	v_cvt_f64_f32_e32 v[5:6], v10
	v_lshrrev_b32_e32 v8, 16, v8
	v_and_or_b32 v7, v8, s11, v7
	v_and_b32_e32 v3, 0xffff, v3
	v_mul_f64 v[5:6], v[5:6], s[2:3]
	v_lshl_or_b32 v3, v7, 16, v3
	v_mov_b32_e32 v7, s4
	v_add_co_u32_e32 v1, vcc, s5, v1
	v_addc_co_u32_e32 v2, vcc, v2, v7, vcc
	global_store_dword v[1:2], v3, off
	v_and_or_b32 v3, v6, s6, v5
	v_cmp_ne_u32_e32 vcc, 0, v3
	v_cndmask_b32_e64 v3, 0, 1, vcc
	v_lshrrev_b32_e32 v5, 8, v6
	v_bfe_u32 v7, v6, 20, 11
	v_and_or_b32 v5, v5, s7, v3
	v_sub_u32_e32 v8, 0x3f1, v7
	v_or_b32_e32 v3, 0x1000, v5
	v_med3_i32 v8, v8, 0, 13
	v_lshrrev_b32_e32 v10, v8, v3
	v_lshlrev_b32_e32 v8, v8, v10
	v_mul_f16_sdwa v4, v33, v4 dst_sel:DWORD dst_unused:UNUSED_PAD src0_sel:WORD_1 src1_sel:DWORD
	v_cmp_ne_u32_e32 vcc, v8, v3
	v_fma_f16 v4, v33, v9, -v4
	v_cndmask_b32_e64 v3, 0, 1, vcc
	v_add_u32_e32 v7, 0xfffffc10, v7
	v_cvt_f32_f16_e32 v4, v4
	v_or_b32_e32 v3, v10, v3
	v_lshl_or_b32 v8, v7, 12, v5
	v_cmp_gt_i32_e32 vcc, 1, v7
	v_cndmask_b32_e32 v3, v8, v3, vcc
	v_and_b32_e32 v8, 7, v3
	v_cmp_lt_i32_e32 vcc, 5, v8
	v_cmp_eq_u32_e64 s[0:1], 3, v8
	v_lshrrev_b32_e32 v8, 2, v3
	v_cvt_f64_f32_e32 v[3:4], v4
	s_or_b64 vcc, s[0:1], vcc
	v_addc_co_u32_e32 v8, vcc, 0, v8, vcc
	v_mul_f64 v[3:4], v[3:4], s[2:3]
	v_cmp_gt_i32_e32 vcc, 31, v7
	v_cndmask_b32_e32 v8, v0, v8, vcc
	v_cmp_ne_u32_e32 vcc, 0, v5
	v_cndmask_b32_e64 v5, 0, 1, vcc
	v_lshl_or_b32 v5, v5, 9, v0
	v_cmp_eq_u32_e32 vcc, s10, v7
	v_cndmask_b32_e32 v5, v8, v5, vcc
	v_and_or_b32 v3, v4, s6, v3
	v_lshrrev_b32_e32 v6, 16, v6
	v_cmp_ne_u32_e32 vcc, 0, v3
	v_and_or_b32 v9, v6, s11, v5
	v_cndmask_b32_e64 v3, 0, 1, vcc
	v_lshrrev_b32_e32 v5, 8, v4
	v_bfe_u32 v6, v4, 20, 11
	v_and_or_b32 v3, v5, s7, v3
	v_sub_u32_e32 v7, 0x3f1, v6
	v_or_b32_e32 v5, 0x1000, v3
	v_med3_i32 v7, v7, 0, 13
	v_lshrrev_b32_e32 v8, v7, v5
	v_lshlrev_b32_e32 v7, v7, v8
	v_cmp_ne_u32_e32 vcc, v7, v5
	v_cndmask_b32_e64 v5, 0, 1, vcc
	v_add_u32_e32 v7, 0xfffffc10, v6
	v_or_b32_e32 v5, v8, v5
	v_lshl_or_b32 v6, v7, 12, v3
	v_cmp_gt_i32_e32 vcc, 1, v7
	v_cndmask_b32_e32 v5, v6, v5, vcc
	v_and_b32_e32 v6, 7, v5
	v_cmp_lt_i32_e32 vcc, 5, v6
	v_cmp_eq_u32_e64 s[0:1], 3, v6
	v_lshrrev_b32_e32 v5, 2, v5
	s_or_b64 vcc, s[0:1], vcc
	v_addc_co_u32_e32 v8, vcc, 0, v5, vcc
	ds_read2_b32 v[5:6], v21 offset0:102 offset1:119
	v_cmp_gt_i32_e32 vcc, 31, v7
	v_cndmask_b32_e32 v8, v0, v8, vcc
	v_cmp_ne_u32_e32 vcc, 0, v3
	v_cndmask_b32_e64 v3, 0, 1, vcc
	s_waitcnt lgkmcnt(0)
	v_lshrrev_b32_e32 v10, 16, v5
	v_mul_f16_sdwa v11, v32, v10 dst_sel:DWORD dst_unused:UNUSED_PAD src0_sel:WORD_1 src1_sel:DWORD
	v_fma_f16 v11, v32, v5, v11
	v_cvt_f32_f16_e32 v11, v11
	v_lshl_or_b32 v3, v3, 9, v0
	v_cmp_eq_u32_e32 vcc, s10, v7
	v_cndmask_b32_e32 v3, v8, v3, vcc
	v_cvt_f64_f32_e32 v[7:8], v11
	v_lshrrev_b32_e32 v4, 16, v4
	v_and_or_b32 v11, v4, s11, v3
	v_add_co_u32_e32 v1, vcc, s5, v1
	v_mul_f64 v[3:4], v[7:8], s[2:3]
	v_mov_b32_e32 v8, s4
	v_and_b32_e32 v9, 0xffff, v9
	v_addc_co_u32_e32 v2, vcc, v2, v8, vcc
	v_lshl_or_b32 v7, v11, 16, v9
	global_store_dword v[1:2], v7, off
	v_mul_f16_sdwa v5, v32, v5 dst_sel:DWORD dst_unused:UNUSED_PAD src0_sel:WORD_1 src1_sel:DWORD
	v_and_or_b32 v3, v4, s6, v3
	v_cmp_ne_u32_e32 vcc, 0, v3
	v_cndmask_b32_e64 v3, 0, 1, vcc
	v_lshrrev_b32_e32 v7, 8, v4
	v_bfe_u32 v8, v4, 20, 11
	v_and_or_b32 v3, v7, s7, v3
	v_sub_u32_e32 v9, 0x3f1, v8
	v_or_b32_e32 v7, 0x1000, v3
	v_med3_i32 v9, v9, 0, 13
	v_lshrrev_b32_e32 v11, v9, v7
	v_lshlrev_b32_e32 v9, v9, v11
	v_cmp_ne_u32_e32 vcc, v9, v7
	v_fma_f16 v5, v32, v10, -v5
	v_cndmask_b32_e64 v7, 0, 1, vcc
	v_add_u32_e32 v9, 0xfffffc10, v8
	v_cvt_f32_f16_e32 v5, v5
	v_or_b32_e32 v7, v11, v7
	v_lshl_or_b32 v8, v9, 12, v3
	v_cmp_gt_i32_e32 vcc, 1, v9
	v_cndmask_b32_e32 v7, v8, v7, vcc
	v_and_b32_e32 v8, 7, v7
	v_cmp_lt_i32_e32 vcc, 5, v8
	v_cmp_eq_u32_e64 s[0:1], 3, v8
	v_lshrrev_b32_e32 v10, 2, v7
	v_cvt_f64_f32_e32 v[7:8], v5
	s_or_b64 vcc, s[0:1], vcc
	v_addc_co_u32_e32 v5, vcc, 0, v10, vcc
	v_mul_f64 v[7:8], v[7:8], s[2:3]
	v_cmp_gt_i32_e32 vcc, 31, v9
	v_cndmask_b32_e32 v5, v0, v5, vcc
	v_cmp_ne_u32_e32 vcc, 0, v3
	v_cndmask_b32_e64 v3, 0, 1, vcc
	v_lshl_or_b32 v3, v3, 9, v0
	v_cmp_eq_u32_e32 vcc, s10, v9
	v_cndmask_b32_e32 v3, v5, v3, vcc
	v_lshrrev_b32_e32 v4, 16, v4
	v_and_or_b32 v5, v4, s11, v3
	v_and_or_b32 v3, v8, s6, v7
	v_cmp_ne_u32_e32 vcc, 0, v3
	v_cndmask_b32_e64 v3, 0, 1, vcc
	v_lshrrev_b32_e32 v4, 8, v8
	v_bfe_u32 v7, v8, 20, 11
	v_and_or_b32 v3, v4, s7, v3
	v_sub_u32_e32 v9, 0x3f1, v7
	v_or_b32_e32 v4, 0x1000, v3
	v_med3_i32 v9, v9, 0, 13
	v_lshrrev_b32_e32 v10, v9, v4
	v_lshlrev_b32_e32 v9, v9, v10
	v_cmp_ne_u32_e32 vcc, v9, v4
	v_cndmask_b32_e64 v4, 0, 1, vcc
	v_add_u32_e32 v7, 0xfffffc10, v7
	v_or_b32_e32 v4, v10, v4
	v_lshl_or_b32 v9, v7, 12, v3
	v_cmp_gt_i32_e32 vcc, 1, v7
	v_cndmask_b32_e32 v4, v9, v4, vcc
	v_and_b32_e32 v9, 7, v4
	v_cmp_lt_i32_e32 vcc, 5, v9
	v_cmp_eq_u32_e64 s[0:1], 3, v9
	v_lshrrev_b32_e32 v9, 16, v6
	v_lshrrev_b32_e32 v4, 2, v4
	s_or_b64 vcc, s[0:1], vcc
	v_mul_f16_sdwa v10, v31, v9 dst_sel:DWORD dst_unused:UNUSED_PAD src0_sel:WORD_1 src1_sel:DWORD
	v_addc_co_u32_e32 v4, vcc, 0, v4, vcc
	v_fma_f16 v10, v31, v6, v10
	v_cmp_gt_i32_e32 vcc, 31, v7
	v_cvt_f32_f16_e32 v10, v10
	v_cndmask_b32_e32 v4, v0, v4, vcc
	v_cmp_ne_u32_e32 vcc, 0, v3
	v_cndmask_b32_e64 v3, 0, 1, vcc
	v_lshl_or_b32 v3, v3, 9, v0
	v_cmp_eq_u32_e32 vcc, s10, v7
	v_cndmask_b32_e32 v7, v4, v3, vcc
	v_cvt_f64_f32_e32 v[3:4], v10
	v_lshrrev_b32_e32 v8, 16, v8
	v_and_or_b32 v7, v8, s11, v7
	v_and_b32_e32 v5, 0xffff, v5
	v_mul_f64 v[3:4], v[3:4], s[2:3]
	v_lshl_or_b32 v5, v7, 16, v5
	v_mov_b32_e32 v7, s4
	v_add_co_u32_e32 v1, vcc, s5, v1
	v_addc_co_u32_e32 v2, vcc, v2, v7, vcc
	global_store_dword v[1:2], v5, off
	v_and_or_b32 v3, v4, s6, v3
	v_cmp_ne_u32_e32 vcc, 0, v3
	v_cndmask_b32_e64 v3, 0, 1, vcc
	v_lshrrev_b32_e32 v5, 8, v4
	v_bfe_u32 v7, v4, 20, 11
	v_and_or_b32 v3, v5, s7, v3
	v_sub_u32_e32 v8, 0x3f1, v7
	v_or_b32_e32 v5, 0x1000, v3
	v_med3_i32 v8, v8, 0, 13
	v_lshrrev_b32_e32 v10, v8, v5
	v_lshlrev_b32_e32 v8, v8, v10
	v_mul_f16_sdwa v6, v31, v6 dst_sel:DWORD dst_unused:UNUSED_PAD src0_sel:WORD_1 src1_sel:DWORD
	v_cmp_ne_u32_e32 vcc, v8, v5
	v_fma_f16 v6, v31, v9, -v6
	v_cndmask_b32_e64 v5, 0, 1, vcc
	v_add_u32_e32 v7, 0xfffffc10, v7
	v_cvt_f32_f16_e32 v6, v6
	v_or_b32_e32 v5, v10, v5
	v_lshl_or_b32 v8, v7, 12, v3
	v_cmp_gt_i32_e32 vcc, 1, v7
	v_cndmask_b32_e32 v5, v8, v5, vcc
	v_and_b32_e32 v8, 7, v5
	v_cmp_lt_i32_e32 vcc, 5, v8
	v_cmp_eq_u32_e64 s[0:1], 3, v8
	v_lshrrev_b32_e32 v8, 2, v5
	v_cvt_f64_f32_e32 v[5:6], v6
	s_or_b64 vcc, s[0:1], vcc
	v_addc_co_u32_e32 v8, vcc, 0, v8, vcc
	v_mul_f64 v[5:6], v[5:6], s[2:3]
	v_cmp_gt_i32_e32 vcc, 31, v7
	v_cndmask_b32_e32 v8, v0, v8, vcc
	v_cmp_ne_u32_e32 vcc, 0, v3
	v_cndmask_b32_e64 v3, 0, 1, vcc
	v_lshl_or_b32 v3, v3, 9, v0
	v_cmp_eq_u32_e32 vcc, s10, v7
	v_cndmask_b32_e32 v3, v8, v3, vcc
	v_lshrrev_b32_e32 v4, 16, v4
	v_and_or_b32 v9, v4, s11, v3
	v_and_or_b32 v3, v6, s6, v5
	v_cmp_ne_u32_e32 vcc, 0, v3
	v_cndmask_b32_e64 v3, 0, 1, vcc
	v_lshrrev_b32_e32 v4, 8, v6
	v_and_or_b32 v5, v4, s7, v3
	v_bfe_u32 v4, v6, 20, 11
	v_sub_u32_e32 v7, 0x3f1, v4
	v_or_b32_e32 v3, 0x1000, v5
	v_med3_i32 v7, v7, 0, 13
	v_lshrrev_b32_e32 v8, v7, v3
	v_lshlrev_b32_e32 v7, v7, v8
	v_cmp_ne_u32_e32 vcc, v7, v3
	v_cndmask_b32_e64 v3, 0, 1, vcc
	v_add_u32_e32 v7, 0xfffffc10, v4
	v_or_b32_e32 v3, v8, v3
	v_lshl_or_b32 v4, v7, 12, v5
	v_cmp_gt_i32_e32 vcc, 1, v7
	v_cndmask_b32_e32 v3, v4, v3, vcc
	v_and_b32_e32 v4, 7, v3
	v_cmp_lt_i32_e32 vcc, 5, v4
	v_cmp_eq_u32_e64 s[0:1], 3, v4
	v_lshrrev_b32_e32 v3, 2, v3
	s_or_b64 vcc, s[0:1], vcc
	v_addc_co_u32_e32 v8, vcc, 0, v3, vcc
	ds_read2_b32 v[3:4], v21 offset0:136 offset1:153
	v_cmp_gt_i32_e32 vcc, 31, v7
	v_cndmask_b32_e32 v8, v0, v8, vcc
	v_cmp_ne_u32_e32 vcc, 0, v5
	v_cndmask_b32_e64 v5, 0, 1, vcc
	s_waitcnt lgkmcnt(0)
	v_lshrrev_b32_e32 v10, 16, v3
	v_mul_f16_sdwa v11, v30, v10 dst_sel:DWORD dst_unused:UNUSED_PAD src0_sel:WORD_1 src1_sel:DWORD
	v_fma_f16 v11, v30, v3, v11
	v_cvt_f32_f16_e32 v11, v11
	v_lshl_or_b32 v5, v5, 9, v0
	v_cmp_eq_u32_e32 vcc, s10, v7
	v_cndmask_b32_e32 v5, v8, v5, vcc
	v_cvt_f64_f32_e32 v[7:8], v11
	v_lshrrev_b32_e32 v6, 16, v6
	v_and_or_b32 v11, v6, s11, v5
	v_add_co_u32_e32 v1, vcc, s5, v1
	v_mul_f64 v[5:6], v[7:8], s[2:3]
	v_mov_b32_e32 v8, s4
	v_and_b32_e32 v9, 0xffff, v9
	v_addc_co_u32_e32 v2, vcc, v2, v8, vcc
	v_lshl_or_b32 v7, v11, 16, v9
	global_store_dword v[1:2], v7, off
	v_mul_f16_sdwa v3, v30, v3 dst_sel:DWORD dst_unused:UNUSED_PAD src0_sel:WORD_1 src1_sel:DWORD
	v_and_or_b32 v5, v6, s6, v5
	v_cmp_ne_u32_e32 vcc, 0, v5
	v_cndmask_b32_e64 v5, 0, 1, vcc
	v_lshrrev_b32_e32 v7, 8, v6
	v_bfe_u32 v8, v6, 20, 11
	v_and_or_b32 v5, v7, s7, v5
	v_sub_u32_e32 v9, 0x3f1, v8
	v_or_b32_e32 v7, 0x1000, v5
	v_med3_i32 v9, v9, 0, 13
	v_lshrrev_b32_e32 v11, v9, v7
	v_lshlrev_b32_e32 v9, v9, v11
	v_cmp_ne_u32_e32 vcc, v9, v7
	v_fma_f16 v3, v30, v10, -v3
	v_cndmask_b32_e64 v7, 0, 1, vcc
	v_add_u32_e32 v9, 0xfffffc10, v8
	v_cvt_f32_f16_e32 v3, v3
	v_or_b32_e32 v7, v11, v7
	v_lshl_or_b32 v8, v9, 12, v5
	v_cmp_gt_i32_e32 vcc, 1, v9
	v_cndmask_b32_e32 v7, v8, v7, vcc
	v_and_b32_e32 v8, 7, v7
	v_cmp_lt_i32_e32 vcc, 5, v8
	v_cmp_eq_u32_e64 s[0:1], 3, v8
	v_lshrrev_b32_e32 v10, 2, v7
	v_cvt_f64_f32_e32 v[7:8], v3
	s_or_b64 vcc, s[0:1], vcc
	v_addc_co_u32_e32 v3, vcc, 0, v10, vcc
	v_mul_f64 v[7:8], v[7:8], s[2:3]
	v_cmp_gt_i32_e32 vcc, 31, v9
	v_cndmask_b32_e32 v3, v0, v3, vcc
	v_cmp_ne_u32_e32 vcc, 0, v5
	v_cndmask_b32_e64 v5, 0, 1, vcc
	v_lshl_or_b32 v5, v5, 9, v0
	v_cmp_eq_u32_e32 vcc, s10, v9
	v_cndmask_b32_e32 v3, v3, v5, vcc
	v_lshrrev_b32_e32 v5, 16, v6
	v_and_or_b32 v3, v5, s11, v3
	v_and_or_b32 v5, v8, s6, v7
	v_cmp_ne_u32_e32 vcc, 0, v5
	v_cndmask_b32_e64 v5, 0, 1, vcc
	v_lshrrev_b32_e32 v6, 8, v8
	v_bfe_u32 v7, v8, 20, 11
	v_and_or_b32 v5, v6, s7, v5
	v_sub_u32_e32 v9, 0x3f1, v7
	v_or_b32_e32 v6, 0x1000, v5
	v_med3_i32 v9, v9, 0, 13
	v_lshrrev_b32_e32 v10, v9, v6
	v_lshlrev_b32_e32 v9, v9, v10
	v_cmp_ne_u32_e32 vcc, v9, v6
	v_cndmask_b32_e64 v6, 0, 1, vcc
	v_add_u32_e32 v7, 0xfffffc10, v7
	v_or_b32_e32 v6, v10, v6
	v_lshl_or_b32 v9, v7, 12, v5
	v_cmp_gt_i32_e32 vcc, 1, v7
	v_cndmask_b32_e32 v6, v9, v6, vcc
	v_and_b32_e32 v9, 7, v6
	v_cmp_lt_i32_e32 vcc, 5, v9
	v_cmp_eq_u32_e64 s[0:1], 3, v9
	v_lshrrev_b32_e32 v9, 16, v4
	v_lshrrev_b32_e32 v6, 2, v6
	s_or_b64 vcc, s[0:1], vcc
	v_mul_f16_sdwa v10, v29, v9 dst_sel:DWORD dst_unused:UNUSED_PAD src0_sel:WORD_1 src1_sel:DWORD
	v_addc_co_u32_e32 v6, vcc, 0, v6, vcc
	v_fma_f16 v10, v29, v4, v10
	v_cmp_gt_i32_e32 vcc, 31, v7
	v_cvt_f32_f16_e32 v10, v10
	v_cndmask_b32_e32 v6, v0, v6, vcc
	v_cmp_ne_u32_e32 vcc, 0, v5
	v_cndmask_b32_e64 v5, 0, 1, vcc
	v_lshl_or_b32 v5, v5, 9, v0
	v_cmp_eq_u32_e32 vcc, s10, v7
	v_cndmask_b32_e32 v7, v6, v5, vcc
	v_cvt_f64_f32_e32 v[5:6], v10
	v_lshrrev_b32_e32 v8, 16, v8
	v_and_or_b32 v7, v8, s11, v7
	v_and_b32_e32 v3, 0xffff, v3
	v_mul_f64 v[5:6], v[5:6], s[2:3]
	v_lshl_or_b32 v3, v7, 16, v3
	v_mov_b32_e32 v7, s4
	v_add_co_u32_e32 v1, vcc, s5, v1
	v_addc_co_u32_e32 v2, vcc, v2, v7, vcc
	global_store_dword v[1:2], v3, off
	v_and_or_b32 v3, v6, s6, v5
	v_cmp_ne_u32_e32 vcc, 0, v3
	v_cndmask_b32_e64 v3, 0, 1, vcc
	v_lshrrev_b32_e32 v5, 8, v6
	v_bfe_u32 v7, v6, 20, 11
	v_and_or_b32 v5, v5, s7, v3
	v_sub_u32_e32 v8, 0x3f1, v7
	v_or_b32_e32 v3, 0x1000, v5
	v_med3_i32 v8, v8, 0, 13
	v_lshrrev_b32_e32 v10, v8, v3
	v_lshlrev_b32_e32 v8, v8, v10
	v_mul_f16_sdwa v4, v29, v4 dst_sel:DWORD dst_unused:UNUSED_PAD src0_sel:WORD_1 src1_sel:DWORD
	v_cmp_ne_u32_e32 vcc, v8, v3
	v_fma_f16 v4, v29, v9, -v4
	v_cndmask_b32_e64 v3, 0, 1, vcc
	v_add_u32_e32 v7, 0xfffffc10, v7
	v_cvt_f32_f16_e32 v4, v4
	v_or_b32_e32 v3, v10, v3
	v_lshl_or_b32 v8, v7, 12, v5
	v_cmp_gt_i32_e32 vcc, 1, v7
	v_cndmask_b32_e32 v3, v8, v3, vcc
	v_and_b32_e32 v8, 7, v3
	v_cmp_lt_i32_e32 vcc, 5, v8
	v_cmp_eq_u32_e64 s[0:1], 3, v8
	v_lshrrev_b32_e32 v8, 2, v3
	v_cvt_f64_f32_e32 v[3:4], v4
	s_or_b64 vcc, s[0:1], vcc
	v_addc_co_u32_e32 v8, vcc, 0, v8, vcc
	v_mul_f64 v[3:4], v[3:4], s[2:3]
	v_cmp_gt_i32_e32 vcc, 31, v7
	v_cndmask_b32_e32 v8, v0, v8, vcc
	v_cmp_ne_u32_e32 vcc, 0, v5
	v_cndmask_b32_e64 v5, 0, 1, vcc
	v_lshl_or_b32 v5, v5, 9, v0
	v_cmp_eq_u32_e32 vcc, s10, v7
	v_cndmask_b32_e32 v5, v8, v5, vcc
	v_and_or_b32 v3, v4, s6, v3
	v_lshrrev_b32_e32 v6, 16, v6
	v_cmp_ne_u32_e32 vcc, 0, v3
	v_and_or_b32 v9, v6, s11, v5
	v_cndmask_b32_e64 v3, 0, 1, vcc
	v_lshrrev_b32_e32 v5, 8, v4
	v_bfe_u32 v6, v4, 20, 11
	v_and_or_b32 v3, v5, s7, v3
	v_sub_u32_e32 v7, 0x3f1, v6
	v_or_b32_e32 v5, 0x1000, v3
	v_med3_i32 v7, v7, 0, 13
	v_lshrrev_b32_e32 v8, v7, v5
	v_lshlrev_b32_e32 v7, v7, v8
	v_cmp_ne_u32_e32 vcc, v7, v5
	v_cndmask_b32_e64 v5, 0, 1, vcc
	v_add_u32_e32 v7, 0xfffffc10, v6
	v_or_b32_e32 v5, v8, v5
	v_lshl_or_b32 v6, v7, 12, v3
	v_cmp_gt_i32_e32 vcc, 1, v7
	v_cndmask_b32_e32 v5, v6, v5, vcc
	v_and_b32_e32 v6, 7, v5
	v_cmp_lt_i32_e32 vcc, 5, v6
	v_cmp_eq_u32_e64 s[0:1], 3, v6
	v_lshrrev_b32_e32 v5, 2, v5
	s_or_b64 vcc, s[0:1], vcc
	v_addc_co_u32_e32 v8, vcc, 0, v5, vcc
	ds_read2_b32 v[5:6], v21 offset0:170 offset1:187
	v_cmp_gt_i32_e32 vcc, 31, v7
	v_cndmask_b32_e32 v8, v0, v8, vcc
	v_cmp_ne_u32_e32 vcc, 0, v3
	v_cndmask_b32_e64 v3, 0, 1, vcc
	s_waitcnt lgkmcnt(0)
	v_lshrrev_b32_e32 v10, 16, v5
	v_mul_f16_sdwa v11, v28, v10 dst_sel:DWORD dst_unused:UNUSED_PAD src0_sel:WORD_1 src1_sel:DWORD
	v_fma_f16 v11, v28, v5, v11
	v_cvt_f32_f16_e32 v11, v11
	v_lshl_or_b32 v3, v3, 9, v0
	v_cmp_eq_u32_e32 vcc, s10, v7
	v_cndmask_b32_e32 v3, v8, v3, vcc
	v_cvt_f64_f32_e32 v[7:8], v11
	v_lshrrev_b32_e32 v4, 16, v4
	v_and_or_b32 v11, v4, s11, v3
	v_add_co_u32_e32 v1, vcc, s5, v1
	v_mul_f64 v[3:4], v[7:8], s[2:3]
	v_mov_b32_e32 v8, s4
	v_and_b32_e32 v9, 0xffff, v9
	v_addc_co_u32_e32 v2, vcc, v2, v8, vcc
	v_lshl_or_b32 v7, v11, 16, v9
	global_store_dword v[1:2], v7, off
	v_mul_f16_sdwa v5, v28, v5 dst_sel:DWORD dst_unused:UNUSED_PAD src0_sel:WORD_1 src1_sel:DWORD
	v_and_or_b32 v3, v4, s6, v3
	v_cmp_ne_u32_e32 vcc, 0, v3
	v_cndmask_b32_e64 v3, 0, 1, vcc
	v_lshrrev_b32_e32 v7, 8, v4
	v_bfe_u32 v8, v4, 20, 11
	v_and_or_b32 v3, v7, s7, v3
	v_sub_u32_e32 v9, 0x3f1, v8
	v_or_b32_e32 v7, 0x1000, v3
	v_med3_i32 v9, v9, 0, 13
	v_lshrrev_b32_e32 v11, v9, v7
	v_lshlrev_b32_e32 v9, v9, v11
	v_cmp_ne_u32_e32 vcc, v9, v7
	v_fma_f16 v5, v28, v10, -v5
	v_cndmask_b32_e64 v7, 0, 1, vcc
	v_add_u32_e32 v9, 0xfffffc10, v8
	v_cvt_f32_f16_e32 v5, v5
	v_or_b32_e32 v7, v11, v7
	v_lshl_or_b32 v8, v9, 12, v3
	v_cmp_gt_i32_e32 vcc, 1, v9
	v_cndmask_b32_e32 v7, v8, v7, vcc
	v_and_b32_e32 v8, 7, v7
	v_cmp_lt_i32_e32 vcc, 5, v8
	v_cmp_eq_u32_e64 s[0:1], 3, v8
	v_lshrrev_b32_e32 v10, 2, v7
	v_cvt_f64_f32_e32 v[7:8], v5
	s_or_b64 vcc, s[0:1], vcc
	v_addc_co_u32_e32 v5, vcc, 0, v10, vcc
	v_mul_f64 v[7:8], v[7:8], s[2:3]
	v_cmp_gt_i32_e32 vcc, 31, v9
	v_cndmask_b32_e32 v5, v0, v5, vcc
	v_cmp_ne_u32_e32 vcc, 0, v3
	v_cndmask_b32_e64 v3, 0, 1, vcc
	v_lshl_or_b32 v3, v3, 9, v0
	v_cmp_eq_u32_e32 vcc, s10, v9
	v_cndmask_b32_e32 v3, v5, v3, vcc
	v_lshrrev_b32_e32 v4, 16, v4
	v_and_or_b32 v5, v4, s11, v3
	v_and_or_b32 v3, v8, s6, v7
	v_cmp_ne_u32_e32 vcc, 0, v3
	v_cndmask_b32_e64 v3, 0, 1, vcc
	v_lshrrev_b32_e32 v4, 8, v8
	v_bfe_u32 v7, v8, 20, 11
	v_and_or_b32 v3, v4, s7, v3
	v_sub_u32_e32 v9, 0x3f1, v7
	v_or_b32_e32 v4, 0x1000, v3
	v_med3_i32 v9, v9, 0, 13
	v_lshrrev_b32_e32 v10, v9, v4
	v_lshlrev_b32_e32 v9, v9, v10
	v_cmp_ne_u32_e32 vcc, v9, v4
	v_cndmask_b32_e64 v4, 0, 1, vcc
	v_add_u32_e32 v7, 0xfffffc10, v7
	v_or_b32_e32 v4, v10, v4
	v_lshl_or_b32 v9, v7, 12, v3
	v_cmp_gt_i32_e32 vcc, 1, v7
	v_cndmask_b32_e32 v4, v9, v4, vcc
	v_and_b32_e32 v9, 7, v4
	v_cmp_lt_i32_e32 vcc, 5, v9
	v_cmp_eq_u32_e64 s[0:1], 3, v9
	v_lshrrev_b32_e32 v9, 16, v6
	v_lshrrev_b32_e32 v4, 2, v4
	s_or_b64 vcc, s[0:1], vcc
	v_mul_f16_sdwa v10, v27, v9 dst_sel:DWORD dst_unused:UNUSED_PAD src0_sel:WORD_1 src1_sel:DWORD
	v_addc_co_u32_e32 v4, vcc, 0, v4, vcc
	v_fma_f16 v10, v27, v6, v10
	v_cmp_gt_i32_e32 vcc, 31, v7
	v_cvt_f32_f16_e32 v10, v10
	v_cndmask_b32_e32 v4, v0, v4, vcc
	v_cmp_ne_u32_e32 vcc, 0, v3
	v_cndmask_b32_e64 v3, 0, 1, vcc
	v_lshl_or_b32 v3, v3, 9, v0
	v_cmp_eq_u32_e32 vcc, s10, v7
	v_cndmask_b32_e32 v7, v4, v3, vcc
	v_cvt_f64_f32_e32 v[3:4], v10
	v_lshrrev_b32_e32 v8, 16, v8
	v_and_or_b32 v7, v8, s11, v7
	v_and_b32_e32 v5, 0xffff, v5
	v_mul_f64 v[3:4], v[3:4], s[2:3]
	v_lshl_or_b32 v5, v7, 16, v5
	v_mov_b32_e32 v7, s4
	v_add_co_u32_e32 v1, vcc, s5, v1
	v_addc_co_u32_e32 v2, vcc, v2, v7, vcc
	global_store_dword v[1:2], v5, off
	v_and_or_b32 v3, v4, s6, v3
	v_cmp_ne_u32_e32 vcc, 0, v3
	v_cndmask_b32_e64 v3, 0, 1, vcc
	v_lshrrev_b32_e32 v5, 8, v4
	v_bfe_u32 v7, v4, 20, 11
	v_and_or_b32 v3, v5, s7, v3
	v_sub_u32_e32 v8, 0x3f1, v7
	v_or_b32_e32 v5, 0x1000, v3
	v_med3_i32 v8, v8, 0, 13
	v_lshrrev_b32_e32 v10, v8, v5
	v_lshlrev_b32_e32 v8, v8, v10
	v_mul_f16_sdwa v6, v27, v6 dst_sel:DWORD dst_unused:UNUSED_PAD src0_sel:WORD_1 src1_sel:DWORD
	v_cmp_ne_u32_e32 vcc, v8, v5
	v_fma_f16 v6, v27, v9, -v6
	v_cndmask_b32_e64 v5, 0, 1, vcc
	v_add_u32_e32 v7, 0xfffffc10, v7
	v_cvt_f32_f16_e32 v6, v6
	v_or_b32_e32 v5, v10, v5
	v_lshl_or_b32 v8, v7, 12, v3
	v_cmp_gt_i32_e32 vcc, 1, v7
	v_cndmask_b32_e32 v5, v8, v5, vcc
	v_and_b32_e32 v8, 7, v5
	v_cmp_lt_i32_e32 vcc, 5, v8
	v_cmp_eq_u32_e64 s[0:1], 3, v8
	v_lshrrev_b32_e32 v8, 2, v5
	v_cvt_f64_f32_e32 v[5:6], v6
	s_or_b64 vcc, s[0:1], vcc
	v_addc_co_u32_e32 v8, vcc, 0, v8, vcc
	v_mul_f64 v[5:6], v[5:6], s[2:3]
	v_cmp_gt_i32_e32 vcc, 31, v7
	v_cndmask_b32_e32 v8, v0, v8, vcc
	v_cmp_ne_u32_e32 vcc, 0, v3
	v_cndmask_b32_e64 v3, 0, 1, vcc
	v_lshl_or_b32 v3, v3, 9, v0
	v_cmp_eq_u32_e32 vcc, s10, v7
	v_cndmask_b32_e32 v3, v8, v3, vcc
	v_lshrrev_b32_e32 v4, 16, v4
	v_and_or_b32 v9, v4, s11, v3
	v_and_or_b32 v3, v6, s6, v5
	v_cmp_ne_u32_e32 vcc, 0, v3
	v_cndmask_b32_e64 v3, 0, 1, vcc
	v_lshrrev_b32_e32 v4, 8, v6
	v_and_or_b32 v5, v4, s7, v3
	v_bfe_u32 v4, v6, 20, 11
	v_sub_u32_e32 v7, 0x3f1, v4
	v_or_b32_e32 v3, 0x1000, v5
	v_med3_i32 v7, v7, 0, 13
	v_lshrrev_b32_e32 v8, v7, v3
	v_lshlrev_b32_e32 v7, v7, v8
	v_cmp_ne_u32_e32 vcc, v7, v3
	v_cndmask_b32_e64 v3, 0, 1, vcc
	v_add_u32_e32 v7, 0xfffffc10, v4
	v_or_b32_e32 v3, v8, v3
	v_lshl_or_b32 v4, v7, 12, v5
	v_cmp_gt_i32_e32 vcc, 1, v7
	v_cndmask_b32_e32 v3, v4, v3, vcc
	v_and_b32_e32 v4, 7, v3
	v_cmp_lt_i32_e32 vcc, 5, v4
	v_cmp_eq_u32_e64 s[0:1], 3, v4
	v_lshrrev_b32_e32 v3, 2, v3
	s_or_b64 vcc, s[0:1], vcc
	v_addc_co_u32_e32 v8, vcc, 0, v3, vcc
	ds_read2_b32 v[3:4], v21 offset0:204 offset1:221
	v_cmp_gt_i32_e32 vcc, 31, v7
	v_cndmask_b32_e32 v8, v0, v8, vcc
	v_cmp_ne_u32_e32 vcc, 0, v5
	v_cndmask_b32_e64 v5, 0, 1, vcc
	s_waitcnt lgkmcnt(0)
	v_lshrrev_b32_e32 v10, 16, v3
	v_mul_f16_sdwa v11, v26, v10 dst_sel:DWORD dst_unused:UNUSED_PAD src0_sel:WORD_1 src1_sel:DWORD
	v_fma_f16 v11, v26, v3, v11
	v_cvt_f32_f16_e32 v11, v11
	v_lshl_or_b32 v5, v5, 9, v0
	v_cmp_eq_u32_e32 vcc, s10, v7
	v_cndmask_b32_e32 v5, v8, v5, vcc
	v_cvt_f64_f32_e32 v[7:8], v11
	v_lshrrev_b32_e32 v6, 16, v6
	v_and_or_b32 v11, v6, s11, v5
	v_add_co_u32_e32 v1, vcc, s5, v1
	v_mul_f64 v[5:6], v[7:8], s[2:3]
	v_mov_b32_e32 v8, s4
	v_and_b32_e32 v9, 0xffff, v9
	v_addc_co_u32_e32 v2, vcc, v2, v8, vcc
	v_lshl_or_b32 v7, v11, 16, v9
	global_store_dword v[1:2], v7, off
	v_mul_f16_sdwa v3, v26, v3 dst_sel:DWORD dst_unused:UNUSED_PAD src0_sel:WORD_1 src1_sel:DWORD
	v_and_or_b32 v5, v6, s6, v5
	v_cmp_ne_u32_e32 vcc, 0, v5
	v_cndmask_b32_e64 v5, 0, 1, vcc
	v_lshrrev_b32_e32 v7, 8, v6
	v_bfe_u32 v8, v6, 20, 11
	v_and_or_b32 v5, v7, s7, v5
	v_sub_u32_e32 v9, 0x3f1, v8
	v_or_b32_e32 v7, 0x1000, v5
	v_med3_i32 v9, v9, 0, 13
	v_lshrrev_b32_e32 v11, v9, v7
	v_lshlrev_b32_e32 v9, v9, v11
	v_cmp_ne_u32_e32 vcc, v9, v7
	v_fma_f16 v3, v26, v10, -v3
	v_cndmask_b32_e64 v7, 0, 1, vcc
	v_add_u32_e32 v9, 0xfffffc10, v8
	v_cvt_f32_f16_e32 v3, v3
	v_or_b32_e32 v7, v11, v7
	v_lshl_or_b32 v8, v9, 12, v5
	v_cmp_gt_i32_e32 vcc, 1, v9
	v_cndmask_b32_e32 v7, v8, v7, vcc
	v_and_b32_e32 v8, 7, v7
	v_cmp_lt_i32_e32 vcc, 5, v8
	v_cmp_eq_u32_e64 s[0:1], 3, v8
	v_lshrrev_b32_e32 v10, 2, v7
	v_cvt_f64_f32_e32 v[7:8], v3
	s_or_b64 vcc, s[0:1], vcc
	v_addc_co_u32_e32 v3, vcc, 0, v10, vcc
	v_mul_f64 v[7:8], v[7:8], s[2:3]
	v_cmp_gt_i32_e32 vcc, 31, v9
	v_cndmask_b32_e32 v3, v0, v3, vcc
	v_cmp_ne_u32_e32 vcc, 0, v5
	v_cndmask_b32_e64 v5, 0, 1, vcc
	v_lshl_or_b32 v5, v5, 9, v0
	v_cmp_eq_u32_e32 vcc, s10, v9
	v_cndmask_b32_e32 v3, v3, v5, vcc
	v_lshrrev_b32_e32 v5, 16, v6
	v_and_or_b32 v3, v5, s11, v3
	v_and_or_b32 v5, v8, s6, v7
	v_cmp_ne_u32_e32 vcc, 0, v5
	v_cndmask_b32_e64 v5, 0, 1, vcc
	v_lshrrev_b32_e32 v6, 8, v8
	v_bfe_u32 v7, v8, 20, 11
	v_and_or_b32 v5, v6, s7, v5
	v_sub_u32_e32 v9, 0x3f1, v7
	v_or_b32_e32 v6, 0x1000, v5
	v_med3_i32 v9, v9, 0, 13
	v_lshrrev_b32_e32 v10, v9, v6
	v_lshlrev_b32_e32 v9, v9, v10
	v_cmp_ne_u32_e32 vcc, v9, v6
	v_cndmask_b32_e64 v6, 0, 1, vcc
	v_add_u32_e32 v7, 0xfffffc10, v7
	v_or_b32_e32 v6, v10, v6
	v_lshl_or_b32 v9, v7, 12, v5
	v_cmp_gt_i32_e32 vcc, 1, v7
	v_cndmask_b32_e32 v6, v9, v6, vcc
	v_and_b32_e32 v9, 7, v6
	v_cmp_lt_i32_e32 vcc, 5, v9
	v_cmp_eq_u32_e64 s[0:1], 3, v9
	v_lshrrev_b32_e32 v9, 16, v4
	v_lshrrev_b32_e32 v6, 2, v6
	s_or_b64 vcc, s[0:1], vcc
	v_mul_f16_sdwa v10, v25, v9 dst_sel:DWORD dst_unused:UNUSED_PAD src0_sel:WORD_1 src1_sel:DWORD
	v_addc_co_u32_e32 v6, vcc, 0, v6, vcc
	v_fma_f16 v10, v25, v4, v10
	v_cmp_gt_i32_e32 vcc, 31, v7
	v_cvt_f32_f16_e32 v10, v10
	v_cndmask_b32_e32 v6, v0, v6, vcc
	v_cmp_ne_u32_e32 vcc, 0, v5
	v_cndmask_b32_e64 v5, 0, 1, vcc
	v_lshl_or_b32 v5, v5, 9, v0
	v_cmp_eq_u32_e32 vcc, s10, v7
	v_cndmask_b32_e32 v7, v6, v5, vcc
	v_cvt_f64_f32_e32 v[5:6], v10
	v_lshrrev_b32_e32 v8, 16, v8
	v_and_or_b32 v7, v8, s11, v7
	v_and_b32_e32 v3, 0xffff, v3
	v_mul_f64 v[5:6], v[5:6], s[2:3]
	v_lshl_or_b32 v3, v7, 16, v3
	v_mov_b32_e32 v7, s4
	v_add_co_u32_e32 v1, vcc, s5, v1
	v_addc_co_u32_e32 v2, vcc, v2, v7, vcc
	global_store_dword v[1:2], v3, off
	v_and_or_b32 v3, v6, s6, v5
	v_cmp_ne_u32_e32 vcc, 0, v3
	v_cndmask_b32_e64 v3, 0, 1, vcc
	v_lshrrev_b32_e32 v5, 8, v6
	v_bfe_u32 v7, v6, 20, 11
	v_and_or_b32 v5, v5, s7, v3
	v_sub_u32_e32 v8, 0x3f1, v7
	v_or_b32_e32 v3, 0x1000, v5
	v_med3_i32 v8, v8, 0, 13
	v_lshrrev_b32_e32 v10, v8, v3
	v_lshlrev_b32_e32 v8, v8, v10
	v_mul_f16_sdwa v4, v25, v4 dst_sel:DWORD dst_unused:UNUSED_PAD src0_sel:WORD_1 src1_sel:DWORD
	v_cmp_ne_u32_e32 vcc, v8, v3
	v_fma_f16 v4, v25, v9, -v4
	v_cndmask_b32_e64 v3, 0, 1, vcc
	v_add_u32_e32 v7, 0xfffffc10, v7
	v_cvt_f32_f16_e32 v4, v4
	v_or_b32_e32 v3, v10, v3
	v_lshl_or_b32 v8, v7, 12, v5
	v_cmp_gt_i32_e32 vcc, 1, v7
	v_cndmask_b32_e32 v3, v8, v3, vcc
	v_and_b32_e32 v8, 7, v3
	v_cmp_lt_i32_e32 vcc, 5, v8
	v_cmp_eq_u32_e64 s[0:1], 3, v8
	v_lshrrev_b32_e32 v8, 2, v3
	v_cvt_f64_f32_e32 v[3:4], v4
	s_or_b64 vcc, s[0:1], vcc
	v_addc_co_u32_e32 v8, vcc, 0, v8, vcc
	v_mul_f64 v[3:4], v[3:4], s[2:3]
	v_cmp_gt_i32_e32 vcc, 31, v7
	v_cndmask_b32_e32 v8, v0, v8, vcc
	v_cmp_ne_u32_e32 vcc, 0, v5
	v_cndmask_b32_e64 v5, 0, 1, vcc
	v_lshl_or_b32 v5, v5, 9, v0
	v_cmp_eq_u32_e32 vcc, s10, v7
	v_cndmask_b32_e32 v5, v8, v5, vcc
	v_and_or_b32 v3, v4, s6, v3
	v_lshrrev_b32_e32 v6, 16, v6
	v_cmp_ne_u32_e32 vcc, 0, v3
	v_and_or_b32 v9, v6, s11, v5
	v_cndmask_b32_e64 v3, 0, 1, vcc
	v_lshrrev_b32_e32 v5, 8, v4
	v_bfe_u32 v6, v4, 20, 11
	v_and_or_b32 v3, v5, s7, v3
	v_sub_u32_e32 v7, 0x3f1, v6
	v_or_b32_e32 v5, 0x1000, v3
	v_med3_i32 v7, v7, 0, 13
	v_lshrrev_b32_e32 v8, v7, v5
	v_lshlrev_b32_e32 v7, v7, v8
	v_cmp_ne_u32_e32 vcc, v7, v5
	v_cndmask_b32_e64 v5, 0, 1, vcc
	v_add_u32_e32 v7, 0xfffffc10, v6
	v_or_b32_e32 v5, v8, v5
	v_lshl_or_b32 v6, v7, 12, v3
	v_cmp_gt_i32_e32 vcc, 1, v7
	v_cndmask_b32_e32 v5, v6, v5, vcc
	v_and_b32_e32 v6, 7, v5
	v_cmp_lt_i32_e32 vcc, 5, v6
	v_cmp_eq_u32_e64 s[0:1], 3, v6
	v_lshrrev_b32_e32 v5, 2, v5
	s_or_b64 vcc, s[0:1], vcc
	v_addc_co_u32_e32 v8, vcc, 0, v5, vcc
	ds_read2_b32 v[5:6], v21 offset0:238 offset1:255
	v_cmp_gt_i32_e32 vcc, 31, v7
	v_cndmask_b32_e32 v8, v0, v8, vcc
	v_cmp_ne_u32_e32 vcc, 0, v3
	v_cndmask_b32_e64 v3, 0, 1, vcc
	s_waitcnt lgkmcnt(0)
	v_lshrrev_b32_e32 v10, 16, v5
	v_mul_f16_sdwa v11, v24, v10 dst_sel:DWORD dst_unused:UNUSED_PAD src0_sel:WORD_1 src1_sel:DWORD
	v_fma_f16 v11, v24, v5, v11
	v_cvt_f32_f16_e32 v11, v11
	v_lshl_or_b32 v3, v3, 9, v0
	v_cmp_eq_u32_e32 vcc, s10, v7
	v_cndmask_b32_e32 v3, v8, v3, vcc
	v_cvt_f64_f32_e32 v[7:8], v11
	v_lshrrev_b32_e32 v4, 16, v4
	v_and_or_b32 v11, v4, s11, v3
	v_add_co_u32_e32 v1, vcc, s5, v1
	v_mul_f64 v[3:4], v[7:8], s[2:3]
	v_mov_b32_e32 v8, s4
	v_and_b32_e32 v9, 0xffff, v9
	v_addc_co_u32_e32 v2, vcc, v2, v8, vcc
	v_lshl_or_b32 v7, v11, 16, v9
	global_store_dword v[1:2], v7, off
	v_mul_f16_sdwa v5, v24, v5 dst_sel:DWORD dst_unused:UNUSED_PAD src0_sel:WORD_1 src1_sel:DWORD
	v_and_or_b32 v3, v4, s6, v3
	v_cmp_ne_u32_e32 vcc, 0, v3
	v_cndmask_b32_e64 v3, 0, 1, vcc
	v_lshrrev_b32_e32 v7, 8, v4
	v_bfe_u32 v8, v4, 20, 11
	v_and_or_b32 v3, v7, s7, v3
	v_sub_u32_e32 v9, 0x3f1, v8
	v_or_b32_e32 v7, 0x1000, v3
	v_med3_i32 v9, v9, 0, 13
	v_lshrrev_b32_e32 v11, v9, v7
	v_lshlrev_b32_e32 v9, v9, v11
	v_cmp_ne_u32_e32 vcc, v9, v7
	v_fma_f16 v5, v24, v10, -v5
	v_cndmask_b32_e64 v7, 0, 1, vcc
	v_add_u32_e32 v9, 0xfffffc10, v8
	v_cvt_f32_f16_e32 v5, v5
	v_or_b32_e32 v7, v11, v7
	v_lshl_or_b32 v8, v9, 12, v3
	v_cmp_gt_i32_e32 vcc, 1, v9
	v_cndmask_b32_e32 v7, v8, v7, vcc
	v_and_b32_e32 v8, 7, v7
	v_cmp_lt_i32_e32 vcc, 5, v8
	v_cmp_eq_u32_e64 s[0:1], 3, v8
	v_lshrrev_b32_e32 v10, 2, v7
	v_cvt_f64_f32_e32 v[7:8], v5
	s_or_b64 vcc, s[0:1], vcc
	v_addc_co_u32_e32 v5, vcc, 0, v10, vcc
	v_mul_f64 v[7:8], v[7:8], s[2:3]
	v_cmp_gt_i32_e32 vcc, 31, v9
	v_cndmask_b32_e32 v5, v0, v5, vcc
	v_cmp_ne_u32_e32 vcc, 0, v3
	v_cndmask_b32_e64 v3, 0, 1, vcc
	v_lshl_or_b32 v3, v3, 9, v0
	v_cmp_eq_u32_e32 vcc, s10, v9
	v_cndmask_b32_e32 v3, v5, v3, vcc
	v_lshrrev_b32_e32 v4, 16, v4
	v_and_or_b32 v5, v4, s11, v3
	v_and_or_b32 v3, v8, s6, v7
	v_cmp_ne_u32_e32 vcc, 0, v3
	v_cndmask_b32_e64 v3, 0, 1, vcc
	v_lshrrev_b32_e32 v4, 8, v8
	v_bfe_u32 v7, v8, 20, 11
	v_and_or_b32 v3, v4, s7, v3
	v_sub_u32_e32 v9, 0x3f1, v7
	v_or_b32_e32 v4, 0x1000, v3
	v_med3_i32 v9, v9, 0, 13
	v_lshrrev_b32_e32 v10, v9, v4
	v_lshlrev_b32_e32 v9, v9, v10
	v_cmp_ne_u32_e32 vcc, v9, v4
	v_cndmask_b32_e64 v4, 0, 1, vcc
	v_add_u32_e32 v7, 0xfffffc10, v7
	v_or_b32_e32 v4, v10, v4
	v_lshl_or_b32 v9, v7, 12, v3
	v_cmp_gt_i32_e32 vcc, 1, v7
	v_cndmask_b32_e32 v4, v9, v4, vcc
	v_and_b32_e32 v9, 7, v4
	v_cmp_lt_i32_e32 vcc, 5, v9
	v_cmp_eq_u32_e64 s[0:1], 3, v9
	v_lshrrev_b32_e32 v9, 16, v6
	v_lshrrev_b32_e32 v4, 2, v4
	s_or_b64 vcc, s[0:1], vcc
	v_mul_f16_sdwa v10, v23, v9 dst_sel:DWORD dst_unused:UNUSED_PAD src0_sel:WORD_1 src1_sel:DWORD
	v_addc_co_u32_e32 v4, vcc, 0, v4, vcc
	v_fma_f16 v10, v23, v6, v10
	v_cmp_gt_i32_e32 vcc, 31, v7
	v_cvt_f32_f16_e32 v10, v10
	v_cndmask_b32_e32 v4, v0, v4, vcc
	v_cmp_ne_u32_e32 vcc, 0, v3
	v_cndmask_b32_e64 v3, 0, 1, vcc
	v_lshl_or_b32 v3, v3, 9, v0
	v_cmp_eq_u32_e32 vcc, s10, v7
	v_cndmask_b32_e32 v7, v4, v3, vcc
	v_cvt_f64_f32_e32 v[3:4], v10
	v_lshrrev_b32_e32 v8, 16, v8
	v_and_or_b32 v7, v8, s11, v7
	v_and_b32_e32 v5, 0xffff, v5
	v_mul_f64 v[3:4], v[3:4], s[2:3]
	v_lshl_or_b32 v5, v7, 16, v5
	v_mov_b32_e32 v7, s4
	v_add_co_u32_e32 v1, vcc, s5, v1
	v_addc_co_u32_e32 v2, vcc, v2, v7, vcc
	global_store_dword v[1:2], v5, off
	v_and_or_b32 v3, v4, s6, v3
	v_cmp_ne_u32_e32 vcc, 0, v3
	v_cndmask_b32_e64 v3, 0, 1, vcc
	v_lshrrev_b32_e32 v5, 8, v4
	v_bfe_u32 v7, v4, 20, 11
	v_and_or_b32 v3, v5, s7, v3
	v_sub_u32_e32 v8, 0x3f1, v7
	v_or_b32_e32 v5, 0x1000, v3
	v_med3_i32 v8, v8, 0, 13
	v_lshrrev_b32_e32 v10, v8, v5
	v_lshlrev_b32_e32 v8, v8, v10
	v_mul_f16_sdwa v6, v23, v6 dst_sel:DWORD dst_unused:UNUSED_PAD src0_sel:WORD_1 src1_sel:DWORD
	v_cmp_ne_u32_e32 vcc, v8, v5
	v_fma_f16 v6, v23, v9, -v6
	v_cndmask_b32_e64 v5, 0, 1, vcc
	v_add_u32_e32 v7, 0xfffffc10, v7
	v_cvt_f32_f16_e32 v6, v6
	v_or_b32_e32 v5, v10, v5
	v_lshl_or_b32 v8, v7, 12, v3
	v_cmp_gt_i32_e32 vcc, 1, v7
	v_cndmask_b32_e32 v5, v8, v5, vcc
	v_and_b32_e32 v8, 7, v5
	v_cmp_lt_i32_e32 vcc, 5, v8
	v_cmp_eq_u32_e64 s[0:1], 3, v8
	v_lshrrev_b32_e32 v8, 2, v5
	v_cvt_f64_f32_e32 v[5:6], v6
	s_or_b64 vcc, s[0:1], vcc
	v_addc_co_u32_e32 v8, vcc, 0, v8, vcc
	v_mul_f64 v[5:6], v[5:6], s[2:3]
	v_cmp_gt_i32_e32 vcc, 31, v7
	v_cndmask_b32_e32 v8, v0, v8, vcc
	v_cmp_ne_u32_e32 vcc, 0, v3
	v_cndmask_b32_e64 v3, 0, 1, vcc
	v_lshl_or_b32 v3, v3, 9, v0
	v_cmp_eq_u32_e32 vcc, s10, v7
	v_cndmask_b32_e32 v3, v8, v3, vcc
	v_lshrrev_b32_e32 v4, 16, v4
	v_and_or_b32 v7, v4, s11, v3
	v_and_or_b32 v3, v6, s6, v5
	v_cmp_ne_u32_e32 vcc, 0, v3
	v_cndmask_b32_e64 v3, 0, 1, vcc
	v_lshrrev_b32_e32 v4, 8, v6
	v_bfe_u32 v5, v6, 20, 11
	v_and_or_b32 v3, v4, s7, v3
	v_sub_u32_e32 v8, 0x3f1, v5
	v_or_b32_e32 v4, 0x1000, v3
	v_med3_i32 v8, v8, 0, 13
	v_lshrrev_b32_e32 v9, v8, v4
	v_lshlrev_b32_e32 v8, v8, v9
	v_cmp_ne_u32_e32 vcc, v8, v4
	v_cndmask_b32_e64 v4, 0, 1, vcc
	v_add_u32_e32 v5, 0xfffffc10, v5
	v_or_b32_e32 v4, v9, v4
	v_lshl_or_b32 v8, v5, 12, v3
	v_cmp_gt_i32_e32 vcc, 1, v5
	v_cndmask_b32_e32 v4, v8, v4, vcc
	v_and_b32_e32 v8, 7, v4
	v_cmp_lt_i32_e32 vcc, 5, v8
	v_cmp_eq_u32_e64 s[0:1], 3, v8
	ds_read_b32 v8, v21 offset:1088
	v_lshrrev_b32_e32 v4, 2, v4
	s_or_b64 vcc, s[0:1], vcc
	v_addc_co_u32_e32 v4, vcc, 0, v4, vcc
	s_waitcnt lgkmcnt(0)
	v_lshrrev_b32_e32 v9, 16, v8
	v_mul_f16_sdwa v10, v22, v9 dst_sel:DWORD dst_unused:UNUSED_PAD src0_sel:WORD_1 src1_sel:DWORD
	v_fma_f16 v10, v22, v8, v10
	v_cmp_gt_i32_e32 vcc, 31, v5
	v_cvt_f32_f16_e32 v10, v10
	v_cndmask_b32_e32 v4, v0, v4, vcc
	v_cmp_ne_u32_e32 vcc, 0, v3
	v_cndmask_b32_e64 v3, 0, 1, vcc
	v_lshl_or_b32 v3, v3, 9, v0
	v_cmp_eq_u32_e32 vcc, s10, v5
	v_cndmask_b32_e32 v5, v4, v3, vcc
	v_cvt_f64_f32_e32 v[3:4], v10
	v_lshrrev_b32_e32 v6, 16, v6
	v_and_or_b32 v5, v6, s11, v5
	v_and_b32_e32 v6, 0xffff, v7
	v_mul_f64 v[3:4], v[3:4], s[2:3]
	v_lshl_or_b32 v5, v5, 16, v6
	v_mov_b32_e32 v6, s4
	v_add_co_u32_e32 v1, vcc, s5, v1
	v_addc_co_u32_e32 v2, vcc, v2, v6, vcc
	global_store_dword v[1:2], v5, off
	v_and_or_b32 v3, v4, s6, v3
	v_cmp_ne_u32_e32 vcc, 0, v3
	v_cndmask_b32_e64 v3, 0, 1, vcc
	v_lshrrev_b32_e32 v5, 8, v4
	v_bfe_u32 v6, v4, 20, 11
	v_and_or_b32 v3, v5, s7, v3
	v_sub_u32_e32 v7, 0x3f1, v6
	v_or_b32_e32 v5, 0x1000, v3
	v_med3_i32 v7, v7, 0, 13
	v_lshrrev_b32_e32 v10, v7, v5
	v_lshlrev_b32_e32 v7, v7, v10
	v_mul_f16_sdwa v8, v22, v8 dst_sel:DWORD dst_unused:UNUSED_PAD src0_sel:WORD_1 src1_sel:DWORD
	v_cmp_ne_u32_e32 vcc, v7, v5
	v_fma_f16 v8, v22, v9, -v8
	v_cndmask_b32_e64 v5, 0, 1, vcc
	v_add_u32_e32 v7, 0xfffffc10, v6
	v_cvt_f32_f16_e32 v8, v8
	v_or_b32_e32 v5, v10, v5
	v_lshl_or_b32 v6, v7, 12, v3
	v_cmp_gt_i32_e32 vcc, 1, v7
	v_cndmask_b32_e32 v5, v6, v5, vcc
	v_and_b32_e32 v6, 7, v5
	v_cmp_lt_i32_e32 vcc, 5, v6
	v_cmp_eq_u32_e64 s[0:1], 3, v6
	v_lshrrev_b32_e32 v9, 2, v5
	v_cvt_f64_f32_e32 v[5:6], v8
	s_or_b64 vcc, s[0:1], vcc
	v_addc_co_u32_e32 v8, vcc, 0, v9, vcc
	v_mul_f64 v[5:6], v[5:6], s[2:3]
	v_cmp_gt_i32_e32 vcc, 31, v7
	v_cndmask_b32_e32 v8, v0, v8, vcc
	v_cmp_ne_u32_e32 vcc, 0, v3
	v_cndmask_b32_e64 v3, 0, 1, vcc
	v_lshl_or_b32 v3, v3, 9, v0
	v_cmp_eq_u32_e32 vcc, s10, v7
	v_cndmask_b32_e32 v3, v8, v3, vcc
	v_lshrrev_b32_e32 v4, 16, v4
	v_and_or_b32 v3, v4, s11, v3
	v_and_or_b32 v4, v6, s6, v5
	v_cmp_ne_u32_e32 vcc, 0, v4
	v_cndmask_b32_e64 v4, 0, 1, vcc
	v_lshrrev_b32_e32 v5, 8, v6
	v_bfe_u32 v7, v6, 20, 11
	v_and_or_b32 v4, v5, s7, v4
	v_sub_u32_e32 v8, 0x3f1, v7
	v_or_b32_e32 v5, 0x1000, v4
	v_med3_i32 v8, v8, 0, 13
	v_lshrrev_b32_e32 v9, v8, v5
	v_lshlrev_b32_e32 v8, v8, v9
	v_cmp_ne_u32_e32 vcc, v8, v5
	v_cndmask_b32_e64 v5, 0, 1, vcc
	v_add_u32_e32 v7, 0xfffffc10, v7
	v_or_b32_e32 v5, v9, v5
	v_lshl_or_b32 v8, v7, 12, v4
	v_cmp_gt_i32_e32 vcc, 1, v7
	v_cndmask_b32_e32 v5, v8, v5, vcc
	v_and_b32_e32 v8, 7, v5
	v_cmp_lt_i32_e32 vcc, 5, v8
	v_cmp_eq_u32_e64 s[0:1], 3, v8
	v_lshrrev_b32_e32 v5, 2, v5
	s_or_b64 vcc, s[0:1], vcc
	v_addc_co_u32_e32 v5, vcc, 0, v5, vcc
	v_cmp_gt_i32_e32 vcc, 31, v7
	v_cndmask_b32_e32 v5, v0, v5, vcc
	v_cmp_ne_u32_e32 vcc, 0, v4
	v_cndmask_b32_e64 v4, 0, 1, vcc
	v_lshl_or_b32 v0, v4, 9, v0
	v_cmp_eq_u32_e32 vcc, s10, v7
	v_cndmask_b32_e32 v0, v5, v0, vcc
	v_lshrrev_b32_e32 v4, 16, v6
	v_and_or_b32 v0, v4, s11, v0
	v_and_b32_e32 v3, 0xffff, v3
	v_lshl_or_b32 v3, v0, 16, v3
	v_mov_b32_e32 v4, s4
	v_add_co_u32_e32 v0, vcc, s5, v1
	v_addc_co_u32_e32 v1, vcc, v2, v4, vcc
	global_store_dword v[0:1], v3, off
.LBB0_2:
	s_endpgm
	.section	.rodata,"a",@progbits
	.p2align	6, 0x0
	.amdhsa_kernel bluestein_single_fwd_len289_dim1_half_op_CI_CI
		.amdhsa_group_segment_fixed_size 8092
		.amdhsa_private_segment_fixed_size 0
		.amdhsa_kernarg_size 104
		.amdhsa_user_sgpr_count 6
		.amdhsa_user_sgpr_private_segment_buffer 1
		.amdhsa_user_sgpr_dispatch_ptr 0
		.amdhsa_user_sgpr_queue_ptr 0
		.amdhsa_user_sgpr_kernarg_segment_ptr 1
		.amdhsa_user_sgpr_dispatch_id 0
		.amdhsa_user_sgpr_flat_scratch_init 0
		.amdhsa_user_sgpr_private_segment_size 0
		.amdhsa_uses_dynamic_stack 0
		.amdhsa_system_sgpr_private_segment_wavefront_offset 0
		.amdhsa_system_sgpr_workgroup_id_x 1
		.amdhsa_system_sgpr_workgroup_id_y 0
		.amdhsa_system_sgpr_workgroup_id_z 0
		.amdhsa_system_sgpr_workgroup_info 0
		.amdhsa_system_vgpr_workitem_id 0
		.amdhsa_next_free_vgpr 163
		.amdhsa_next_free_sgpr 31
		.amdhsa_reserve_vcc 1
		.amdhsa_reserve_flat_scratch 0
		.amdhsa_float_round_mode_32 0
		.amdhsa_float_round_mode_16_64 0
		.amdhsa_float_denorm_mode_32 3
		.amdhsa_float_denorm_mode_16_64 3
		.amdhsa_dx10_clamp 1
		.amdhsa_ieee_mode 1
		.amdhsa_fp16_overflow 0
		.amdhsa_exception_fp_ieee_invalid_op 0
		.amdhsa_exception_fp_denorm_src 0
		.amdhsa_exception_fp_ieee_div_zero 0
		.amdhsa_exception_fp_ieee_overflow 0
		.amdhsa_exception_fp_ieee_underflow 0
		.amdhsa_exception_fp_ieee_inexact 0
		.amdhsa_exception_int_div_zero 0
	.end_amdhsa_kernel
	.text
.Lfunc_end0:
	.size	bluestein_single_fwd_len289_dim1_half_op_CI_CI, .Lfunc_end0-bluestein_single_fwd_len289_dim1_half_op_CI_CI
                                        ; -- End function
	.section	.AMDGPU.csdata,"",@progbits
; Kernel info:
; codeLenInByte = 31648
; NumSgprs: 35
; NumVgprs: 163
; ScratchSize: 0
; MemoryBound: 0
; FloatMode: 240
; IeeeMode: 1
; LDSByteSize: 8092 bytes/workgroup (compile time only)
; SGPRBlocks: 4
; VGPRBlocks: 40
; NumSGPRsForWavesPerEU: 35
; NumVGPRsForWavesPerEU: 163
; Occupancy: 1
; WaveLimiterHint : 1
; COMPUTE_PGM_RSRC2:SCRATCH_EN: 0
; COMPUTE_PGM_RSRC2:USER_SGPR: 6
; COMPUTE_PGM_RSRC2:TRAP_HANDLER: 0
; COMPUTE_PGM_RSRC2:TGID_X_EN: 1
; COMPUTE_PGM_RSRC2:TGID_Y_EN: 0
; COMPUTE_PGM_RSRC2:TGID_Z_EN: 0
; COMPUTE_PGM_RSRC2:TIDIG_COMP_CNT: 0
	.type	__hip_cuid_99e35b9ce5f0b094,@object ; @__hip_cuid_99e35b9ce5f0b094
	.section	.bss,"aw",@nobits
	.globl	__hip_cuid_99e35b9ce5f0b094
__hip_cuid_99e35b9ce5f0b094:
	.byte	0                               ; 0x0
	.size	__hip_cuid_99e35b9ce5f0b094, 1

	.ident	"AMD clang version 19.0.0git (https://github.com/RadeonOpenCompute/llvm-project roc-6.4.0 25133 c7fe45cf4b819c5991fe208aaa96edf142730f1d)"
	.section	".note.GNU-stack","",@progbits
	.addrsig
	.addrsig_sym __hip_cuid_99e35b9ce5f0b094
	.amdgpu_metadata
---
amdhsa.kernels:
  - .args:
      - .actual_access:  read_only
        .address_space:  global
        .offset:         0
        .size:           8
        .value_kind:     global_buffer
      - .actual_access:  read_only
        .address_space:  global
        .offset:         8
        .size:           8
        .value_kind:     global_buffer
      - .actual_access:  read_only
        .address_space:  global
        .offset:         16
        .size:           8
        .value_kind:     global_buffer
      - .actual_access:  read_only
        .address_space:  global
        .offset:         24
        .size:           8
        .value_kind:     global_buffer
      - .actual_access:  read_only
        .address_space:  global
        .offset:         32
        .size:           8
        .value_kind:     global_buffer
      - .offset:         40
        .size:           8
        .value_kind:     by_value
      - .address_space:  global
        .offset:         48
        .size:           8
        .value_kind:     global_buffer
      - .address_space:  global
        .offset:         56
        .size:           8
        .value_kind:     global_buffer
      - .address_space:  global
        .offset:         64
        .size:           8
        .value_kind:     global_buffer
      - .address_space:  global
        .offset:         72
        .size:           8
        .value_kind:     global_buffer
      - .offset:         80
        .size:           4
        .value_kind:     by_value
      - .address_space:  global
        .offset:         88
        .size:           8
        .value_kind:     global_buffer
      - .address_space:  global
        .offset:         96
        .size:           8
        .value_kind:     global_buffer
    .group_segment_fixed_size: 8092
    .kernarg_segment_align: 8
    .kernarg_segment_size: 104
    .language:       OpenCL C
    .language_version:
      - 2
      - 0
    .max_flat_workgroup_size: 119
    .name:           bluestein_single_fwd_len289_dim1_half_op_CI_CI
    .private_segment_fixed_size: 0
    .sgpr_count:     35
    .sgpr_spill_count: 0
    .symbol:         bluestein_single_fwd_len289_dim1_half_op_CI_CI.kd
    .uniform_work_group_size: 1
    .uses_dynamic_stack: false
    .vgpr_count:     163
    .vgpr_spill_count: 0
    .wavefront_size: 64
amdhsa.target:   amdgcn-amd-amdhsa--gfx906
amdhsa.version:
  - 1
  - 2
...

	.end_amdgpu_metadata
